;; amdgpu-corpus repo=ROCm/rocFFT kind=compiled arch=gfx906 opt=O3
	.text
	.amdgcn_target "amdgcn-amd-amdhsa--gfx906"
	.amdhsa_code_object_version 6
	.protected	fft_rtc_back_len1701_factors_3_3_3_3_3_7_wgs_63_tpt_63_halfLds_sp_op_CI_CI_sbrr_dirReg ; -- Begin function fft_rtc_back_len1701_factors_3_3_3_3_3_7_wgs_63_tpt_63_halfLds_sp_op_CI_CI_sbrr_dirReg
	.globl	fft_rtc_back_len1701_factors_3_3_3_3_3_7_wgs_63_tpt_63_halfLds_sp_op_CI_CI_sbrr_dirReg
	.p2align	8
	.type	fft_rtc_back_len1701_factors_3_3_3_3_3_7_wgs_63_tpt_63_halfLds_sp_op_CI_CI_sbrr_dirReg,@function
fft_rtc_back_len1701_factors_3_3_3_3_3_7_wgs_63_tpt_63_halfLds_sp_op_CI_CI_sbrr_dirReg: ; @fft_rtc_back_len1701_factors_3_3_3_3_3_7_wgs_63_tpt_63_halfLds_sp_op_CI_CI_sbrr_dirReg
; %bb.0:
	s_load_dwordx4 s[16:19], s[4:5], 0x18
	s_load_dwordx4 s[8:11], s[4:5], 0x0
	;; [unrolled: 1-line block ×3, first 2 shown]
	v_mul_u32_u24_e32 v1, 0x411, v0
	v_mov_b32_e32 v5, 0
	s_waitcnt lgkmcnt(0)
	s_load_dwordx2 s[20:21], s[16:17], 0x0
	s_load_dwordx2 s[2:3], s[18:19], 0x0
	v_cmp_lt_u64_e64 s[0:1], s[10:11], 2
	v_mov_b32_e32 v55, 0
	v_add_u32_sdwa v7, s6, v1 dst_sel:DWORD dst_unused:UNUSED_PAD src0_sel:DWORD src1_sel:WORD_1
	v_mov_b32_e32 v8, v5
	s_and_b64 vcc, exec, s[0:1]
	v_mov_b32_e32 v56, 0
	s_cbranch_vccnz .LBB0_8
; %bb.1:
	s_load_dwordx2 s[0:1], s[4:5], 0x10
	s_add_u32 s6, s18, 8
	s_addc_u32 s7, s19, 0
	s_add_u32 s22, s16, 8
	s_addc_u32 s23, s17, 0
	v_mov_b32_e32 v55, 0
	s_waitcnt lgkmcnt(0)
	s_add_u32 s24, s0, 8
	v_mov_b32_e32 v56, 0
	v_mov_b32_e32 v1, v55
	s_addc_u32 s25, s1, 0
	s_mov_b64 s[26:27], 1
	v_mov_b32_e32 v2, v56
.LBB0_2:                                ; =>This Inner Loop Header: Depth=1
	s_load_dwordx2 s[28:29], s[24:25], 0x0
                                        ; implicit-def: $vgpr3_vgpr4
	s_waitcnt lgkmcnt(0)
	v_or_b32_e32 v6, s29, v8
	v_cmp_ne_u64_e32 vcc, 0, v[5:6]
	s_and_saveexec_b64 s[0:1], vcc
	s_xor_b64 s[30:31], exec, s[0:1]
	s_cbranch_execz .LBB0_4
; %bb.3:                                ;   in Loop: Header=BB0_2 Depth=1
	v_cvt_f32_u32_e32 v3, s28
	v_cvt_f32_u32_e32 v4, s29
	s_sub_u32 s0, 0, s28
	s_subb_u32 s1, 0, s29
	v_mac_f32_e32 v3, 0x4f800000, v4
	v_rcp_f32_e32 v3, v3
	v_mul_f32_e32 v3, 0x5f7ffffc, v3
	v_mul_f32_e32 v4, 0x2f800000, v3
	v_trunc_f32_e32 v4, v4
	v_mac_f32_e32 v3, 0xcf800000, v4
	v_cvt_u32_f32_e32 v4, v4
	v_cvt_u32_f32_e32 v3, v3
	v_mul_lo_u32 v6, s0, v4
	v_mul_hi_u32 v9, s0, v3
	v_mul_lo_u32 v11, s1, v3
	v_mul_lo_u32 v10, s0, v3
	v_add_u32_e32 v6, v9, v6
	v_add_u32_e32 v6, v6, v11
	v_mul_hi_u32 v9, v3, v10
	v_mul_lo_u32 v11, v3, v6
	v_mul_hi_u32 v13, v3, v6
	v_mul_hi_u32 v12, v4, v10
	v_mul_lo_u32 v10, v4, v10
	v_mul_hi_u32 v14, v4, v6
	v_add_co_u32_e32 v9, vcc, v9, v11
	v_addc_co_u32_e32 v11, vcc, 0, v13, vcc
	v_mul_lo_u32 v6, v4, v6
	v_add_co_u32_e32 v9, vcc, v9, v10
	v_addc_co_u32_e32 v9, vcc, v11, v12, vcc
	v_addc_co_u32_e32 v10, vcc, 0, v14, vcc
	v_add_co_u32_e32 v6, vcc, v9, v6
	v_addc_co_u32_e32 v9, vcc, 0, v10, vcc
	v_add_co_u32_e32 v3, vcc, v3, v6
	v_addc_co_u32_e32 v4, vcc, v4, v9, vcc
	v_mul_lo_u32 v6, s0, v4
	v_mul_hi_u32 v9, s0, v3
	v_mul_lo_u32 v10, s1, v3
	v_mul_lo_u32 v11, s0, v3
	v_add_u32_e32 v6, v9, v6
	v_add_u32_e32 v6, v6, v10
	v_mul_lo_u32 v12, v3, v6
	v_mul_hi_u32 v13, v3, v11
	v_mul_hi_u32 v14, v3, v6
	;; [unrolled: 1-line block ×3, first 2 shown]
	v_mul_lo_u32 v11, v4, v11
	v_mul_hi_u32 v9, v4, v6
	v_add_co_u32_e32 v12, vcc, v13, v12
	v_addc_co_u32_e32 v13, vcc, 0, v14, vcc
	v_mul_lo_u32 v6, v4, v6
	v_add_co_u32_e32 v11, vcc, v12, v11
	v_addc_co_u32_e32 v10, vcc, v13, v10, vcc
	v_addc_co_u32_e32 v9, vcc, 0, v9, vcc
	v_add_co_u32_e32 v6, vcc, v10, v6
	v_addc_co_u32_e32 v9, vcc, 0, v9, vcc
	v_add_co_u32_e32 v6, vcc, v3, v6
	v_addc_co_u32_e32 v9, vcc, v4, v9, vcc
	v_mad_u64_u32 v[3:4], s[0:1], v7, v9, 0
	v_mul_hi_u32 v10, v7, v6
	v_add_co_u32_e32 v11, vcc, v10, v3
	v_addc_co_u32_e32 v12, vcc, 0, v4, vcc
	v_mad_u64_u32 v[3:4], s[0:1], v8, v6, 0
	v_mad_u64_u32 v[9:10], s[0:1], v8, v9, 0
	v_add_co_u32_e32 v3, vcc, v11, v3
	v_addc_co_u32_e32 v3, vcc, v12, v4, vcc
	v_addc_co_u32_e32 v4, vcc, 0, v10, vcc
	v_add_co_u32_e32 v6, vcc, v3, v9
	v_addc_co_u32_e32 v9, vcc, 0, v4, vcc
	v_mul_lo_u32 v10, s29, v6
	v_mul_lo_u32 v11, s28, v9
	v_mad_u64_u32 v[3:4], s[0:1], s28, v6, 0
	v_add3_u32 v4, v4, v11, v10
	v_sub_u32_e32 v10, v8, v4
	v_mov_b32_e32 v11, s29
	v_sub_co_u32_e32 v3, vcc, v7, v3
	v_subb_co_u32_e64 v10, s[0:1], v10, v11, vcc
	v_subrev_co_u32_e64 v11, s[0:1], s28, v3
	v_subbrev_co_u32_e64 v10, s[0:1], 0, v10, s[0:1]
	v_cmp_le_u32_e64 s[0:1], s29, v10
	v_cndmask_b32_e64 v12, 0, -1, s[0:1]
	v_cmp_le_u32_e64 s[0:1], s28, v11
	v_cndmask_b32_e64 v11, 0, -1, s[0:1]
	v_cmp_eq_u32_e64 s[0:1], s29, v10
	v_cndmask_b32_e64 v10, v12, v11, s[0:1]
	v_add_co_u32_e64 v11, s[0:1], 2, v6
	v_addc_co_u32_e64 v12, s[0:1], 0, v9, s[0:1]
	v_add_co_u32_e64 v13, s[0:1], 1, v6
	v_addc_co_u32_e64 v14, s[0:1], 0, v9, s[0:1]
	v_subb_co_u32_e32 v4, vcc, v8, v4, vcc
	v_cmp_ne_u32_e64 s[0:1], 0, v10
	v_cmp_le_u32_e32 vcc, s29, v4
	v_cndmask_b32_e64 v10, v14, v12, s[0:1]
	v_cndmask_b32_e64 v12, 0, -1, vcc
	v_cmp_le_u32_e32 vcc, s28, v3
	v_cndmask_b32_e64 v3, 0, -1, vcc
	v_cmp_eq_u32_e32 vcc, s29, v4
	v_cndmask_b32_e32 v3, v12, v3, vcc
	v_cmp_ne_u32_e32 vcc, 0, v3
	v_cndmask_b32_e64 v3, v13, v11, s[0:1]
	v_cndmask_b32_e32 v4, v9, v10, vcc
	v_cndmask_b32_e32 v3, v6, v3, vcc
.LBB0_4:                                ;   in Loop: Header=BB0_2 Depth=1
	s_andn2_saveexec_b64 s[0:1], s[30:31]
	s_cbranch_execz .LBB0_6
; %bb.5:                                ;   in Loop: Header=BB0_2 Depth=1
	v_cvt_f32_u32_e32 v3, s28
	s_sub_i32 s30, 0, s28
	v_rcp_iflag_f32_e32 v3, v3
	v_mul_f32_e32 v3, 0x4f7ffffe, v3
	v_cvt_u32_f32_e32 v3, v3
	v_mul_lo_u32 v4, s30, v3
	v_mul_hi_u32 v4, v3, v4
	v_add_u32_e32 v3, v3, v4
	v_mul_hi_u32 v3, v7, v3
	v_mul_lo_u32 v4, v3, s28
	v_add_u32_e32 v6, 1, v3
	v_sub_u32_e32 v4, v7, v4
	v_subrev_u32_e32 v9, s28, v4
	v_cmp_le_u32_e32 vcc, s28, v4
	v_cndmask_b32_e32 v4, v4, v9, vcc
	v_cndmask_b32_e32 v3, v3, v6, vcc
	v_add_u32_e32 v6, 1, v3
	v_cmp_le_u32_e32 vcc, s28, v4
	v_cndmask_b32_e32 v3, v3, v6, vcc
	v_mov_b32_e32 v4, v5
.LBB0_6:                                ;   in Loop: Header=BB0_2 Depth=1
	s_or_b64 exec, exec, s[0:1]
	v_mul_lo_u32 v6, v4, s28
	v_mul_lo_u32 v11, v3, s29
	v_mad_u64_u32 v[9:10], s[0:1], v3, s28, 0
	s_load_dwordx2 s[0:1], s[22:23], 0x0
	s_load_dwordx2 s[28:29], s[6:7], 0x0
	v_add3_u32 v6, v10, v11, v6
	v_sub_co_u32_e32 v7, vcc, v7, v9
	v_subb_co_u32_e32 v6, vcc, v8, v6, vcc
	s_waitcnt lgkmcnt(0)
	v_mul_lo_u32 v8, s0, v6
	v_mul_lo_u32 v9, s1, v7
	v_mad_u64_u32 v[55:56], s[0:1], s0, v7, v[55:56]
	v_mul_lo_u32 v6, s28, v6
	v_mul_lo_u32 v10, s29, v7
	v_mad_u64_u32 v[1:2], s[0:1], s28, v7, v[1:2]
	s_add_u32 s26, s26, 1
	s_addc_u32 s27, s27, 0
	s_add_u32 s6, s6, 8
	v_add3_u32 v2, v10, v2, v6
	s_addc_u32 s7, s7, 0
	v_mov_b32_e32 v6, s10
	s_add_u32 s22, s22, 8
	v_mov_b32_e32 v7, s11
	s_addc_u32 s23, s23, 0
	v_cmp_ge_u64_e32 vcc, s[26:27], v[6:7]
	s_add_u32 s24, s24, 8
	v_add3_u32 v56, v9, v56, v8
	s_addc_u32 s25, s25, 0
	s_cbranch_vccnz .LBB0_9
; %bb.7:                                ;   in Loop: Header=BB0_2 Depth=1
	v_mov_b32_e32 v8, v4
	v_mov_b32_e32 v7, v3
	s_branch .LBB0_2
.LBB0_8:
	v_mov_b32_e32 v1, v55
	v_mov_b32_e32 v3, v7
	;; [unrolled: 1-line block ×4, first 2 shown]
.LBB0_9:
	s_load_dwordx2 s[0:1], s[4:5], 0x28
	s_lshl_b64 s[10:11], s[10:11], 3
	s_add_u32 s4, s18, s10
	s_addc_u32 s5, s19, s11
                                        ; implicit-def: $vgpr69
                                        ; implicit-def: $vgpr71
                                        ; implicit-def: $vgpr72
                                        ; implicit-def: $vgpr70
                                        ; implicit-def: $vgpr60
                                        ; implicit-def: $vgpr61
                                        ; implicit-def: $vgpr62
                                        ; implicit-def: $vgpr63
                                        ; implicit-def: $vgpr64
	s_waitcnt lgkmcnt(0)
	v_cmp_gt_u64_e32 vcc, s[0:1], v[3:4]
	v_cmp_le_u64_e64 s[0:1], s[0:1], v[3:4]
	s_and_saveexec_b64 s[6:7], s[0:1]
	s_xor_b64 s[0:1], exec, s[6:7]
	s_cbranch_execz .LBB0_11
; %bb.10:
	s_mov_b32 s6, 0x4104105
	v_mul_hi_u32 v5, v0, s6
                                        ; implicit-def: $vgpr55_vgpr56
	v_mul_u32_u24_e32 v5, 63, v5
	v_sub_u32_e32 v69, v0, v5
	v_add_u32_e32 v71, 63, v69
	v_add_u32_e32 v72, 0x7e, v69
	;; [unrolled: 1-line block ×8, first 2 shown]
                                        ; implicit-def: $vgpr0
.LBB0_11:
	s_or_saveexec_b64 s[6:7], s[0:1]
                                        ; implicit-def: $vgpr22
                                        ; implicit-def: $vgpr57
                                        ; implicit-def: $vgpr59
                                        ; implicit-def: $vgpr24
                                        ; implicit-def: $vgpr26
                                        ; implicit-def: $vgpr28
                                        ; implicit-def: $vgpr16
                                        ; implicit-def: $vgpr30
                                        ; implicit-def: $vgpr32
                                        ; implicit-def: $vgpr12
                                        ; implicit-def: $vgpr38
                                        ; implicit-def: $vgpr6
                                        ; implicit-def: $vgpr8
                                        ; implicit-def: $vgpr40
                                        ; implicit-def: $vgpr42
                                        ; implicit-def: $vgpr44
                                        ; implicit-def: $vgpr48
                                        ; implicit-def: $vgpr10
                                        ; implicit-def: $vgpr50
                                        ; implicit-def: $vgpr52
                                        ; implicit-def: $vgpr54
                                        ; implicit-def: $vgpr34
                                        ; implicit-def: $vgpr14
                                        ; implicit-def: $vgpr36
                                        ; implicit-def: $vgpr18
                                        ; implicit-def: $vgpr46
                                        ; implicit-def: $vgpr20
	s_xor_b64 exec, exec, s[6:7]
	s_cbranch_execz .LBB0_13
; %bb.12:
	s_add_u32 s0, s16, s10
	s_mov_b32 s10, 0x4104105
	v_mul_hi_u32 v5, v0, s10
	s_addc_u32 s1, s17, s11
	s_load_dwordx2 s[0:1], s[0:1], 0x0
	v_mul_u32_u24_e32 v5, 63, v5
	v_sub_u32_e32 v69, v0, v5
	v_mad_u64_u32 v[5:6], s[10:11], s20, v69, 0
	s_waitcnt lgkmcnt(0)
	v_mul_lo_u32 v11, s1, v3
	v_mul_lo_u32 v12, s0, v4
	v_mad_u64_u32 v[7:8], s[0:1], s0, v3, 0
	v_mov_b32_e32 v0, v6
	v_mad_u64_u32 v[9:10], s[0:1], s21, v69, v[0:1]
	v_add3_u32 v8, v8, v12, v11
	v_lshlrev_b64 v[7:8], 3, v[7:8]
	v_mov_b32_e32 v0, s13
	v_add_co_u32_e64 v11, s[0:1], s12, v7
	v_add_u32_e32 v12, 0x237, v69
	v_mov_b32_e32 v6, v9
	v_addc_co_u32_e64 v0, s[0:1], v0, v8, s[0:1]
	v_mad_u64_u32 v[9:10], s[0:1], s20, v12, 0
	v_lshlrev_b64 v[7:8], 3, v[55:56]
	v_add_u32_e32 v13, 0x46e, v69
	v_add_co_u32_e64 v21, s[0:1], v11, v7
	v_addc_co_u32_e64 v22, s[0:1], v0, v8, s[0:1]
	v_mov_b32_e32 v0, v10
	v_mad_u64_u32 v[7:8], s[0:1], s21, v12, v[0:1]
	v_mad_u64_u32 v[11:12], s[0:1], s20, v13, 0
	v_lshlrev_b64 v[5:6], 3, v[5:6]
	v_mov_b32_e32 v10, v7
	v_add_co_u32_e64 v5, s[0:1], v21, v5
	v_mov_b32_e32 v0, v12
	v_add_u32_e32 v71, 63, v69
	v_addc_co_u32_e64 v6, s[0:1], v22, v6, s[0:1]
	v_lshlrev_b64 v[7:8], 3, v[9:10]
	v_mad_u64_u32 v[9:10], s[0:1], s21, v13, v[0:1]
	v_mad_u64_u32 v[13:14], s[0:1], s20, v71, 0
	v_add_co_u32_e64 v7, s[0:1], v21, v7
	v_mov_b32_e32 v12, v9
	v_mov_b32_e32 v0, v14
	v_add_u32_e32 v17, 0x276, v69
	v_addc_co_u32_e64 v8, s[0:1], v22, v8, s[0:1]
	v_lshlrev_b64 v[9:10], 3, v[11:12]
	v_mad_u64_u32 v[11:12], s[0:1], s21, v71, v[0:1]
	v_mad_u64_u32 v[15:16], s[0:1], s20, v17, 0
	v_add_co_u32_e64 v9, s[0:1], v21, v9
	v_mov_b32_e32 v14, v11
	v_mov_b32_e32 v0, v16
	v_add_u32_e32 v19, 0x4ad, v69
	v_addc_co_u32_e64 v10, s[0:1], v22, v10, s[0:1]
	v_lshlrev_b64 v[11:12], 3, v[13:14]
	v_mad_u64_u32 v[13:14], s[0:1], s21, v17, v[0:1]
	v_mad_u64_u32 v[17:18], s[0:1], s20, v19, 0
	v_add_co_u32_e64 v11, s[0:1], v21, v11
	v_mov_b32_e32 v16, v13
	v_mov_b32_e32 v0, v18
	v_add_u32_e32 v72, 0x7e, v69
	v_addc_co_u32_e64 v12, s[0:1], v22, v12, s[0:1]
	v_lshlrev_b64 v[13:14], 3, v[15:16]
	v_mad_u64_u32 v[15:16], s[0:1], s21, v19, v[0:1]
	v_mad_u64_u32 v[19:20], s[0:1], s20, v72, 0
	v_add_co_u32_e64 v37, s[0:1], v21, v13
	v_mov_b32_e32 v18, v15
	v_mov_b32_e32 v0, v20
	v_addc_co_u32_e64 v38, s[0:1], v22, v14, s[0:1]
	v_lshlrev_b64 v[13:14], 3, v[17:18]
	v_mad_u64_u32 v[15:16], s[0:1], s21, v72, v[0:1]
	v_add_u32_e32 v18, 0x2b5, v69
	v_mad_u64_u32 v[16:17], s[0:1], s20, v18, 0
	v_add_co_u32_e64 v39, s[0:1], v21, v13
	v_mov_b32_e32 v0, v17
	v_addc_co_u32_e64 v40, s[0:1], v22, v14, s[0:1]
	v_mov_b32_e32 v20, v15
	v_mad_u64_u32 v[17:18], s[0:1], s21, v18, v[0:1]
	v_add_u32_e32 v15, 0x4ec, v69
	v_lshlrev_b64 v[13:14], 3, v[19:20]
	v_mad_u64_u32 v[18:19], s[0:1], s20, v15, 0
	v_add_co_u32_e64 v41, s[0:1], v21, v13
	v_mov_b32_e32 v0, v19
	v_addc_co_u32_e64 v42, s[0:1], v22, v14, s[0:1]
	v_lshlrev_b64 v[13:14], 3, v[16:17]
	v_mad_u64_u32 v[15:16], s[0:1], s21, v15, v[0:1]
	v_add_u32_e32 v70, 0xbd, v69
	v_mad_u64_u32 v[16:17], s[0:1], s20, v70, 0
	v_add_co_u32_e64 v43, s[0:1], v21, v13
	v_mov_b32_e32 v19, v15
	v_mov_b32_e32 v0, v17
	v_addc_co_u32_e64 v44, s[0:1], v22, v14, s[0:1]
	v_lshlrev_b64 v[13:14], 3, v[18:19]
	v_mad_u64_u32 v[17:18], s[0:1], s21, v70, v[0:1]
	v_add_u32_e32 v15, 0x2f4, v69
	v_mad_u64_u32 v[18:19], s[0:1], s20, v15, 0
	v_add_co_u32_e64 v47, s[0:1], v21, v13
	v_mov_b32_e32 v0, v19
	v_addc_co_u32_e64 v48, s[0:1], v22, v14, s[0:1]
	v_lshlrev_b64 v[13:14], 3, v[16:17]
	v_mad_u64_u32 v[15:16], s[0:1], s21, v15, v[0:1]
	v_add_u32_e32 v20, 0x52b, v69
	v_mad_u64_u32 v[16:17], s[0:1], s20, v20, 0
	v_add_co_u32_e64 v49, s[0:1], v21, v13
	v_mov_b32_e32 v19, v15
	v_mov_b32_e32 v0, v17
	v_addc_co_u32_e64 v50, s[0:1], v22, v14, s[0:1]
	v_lshlrev_b64 v[13:14], 3, v[18:19]
	v_mad_u64_u32 v[17:18], s[0:1], s21, v20, v[0:1]
	v_add_u32_e32 v60, 0xfc, v69
	;; [unrolled: 15-line block ×9, first 2 shown]
	v_mad_u64_u32 v[18:19], s[0:1], s20, v15, 0
	v_add_co_u32_e64 v93, s[0:1], v21, v13
	v_mov_b32_e32 v0, v19
	v_addc_co_u32_e64 v94, s[0:1], v22, v14, s[0:1]
	v_lshlrev_b64 v[13:14], 3, v[16:17]
	v_mad_u64_u32 v[15:16], s[0:1], s21, v15, v[0:1]
	v_add_co_u32_e64 v95, s[0:1], v21, v13
	v_mov_b32_e32 v19, v15
	v_addc_co_u32_e64 v96, s[0:1], v22, v14, s[0:1]
	v_lshlrev_b64 v[13:14], 3, v[18:19]
	v_add_co_u32_e64 v97, s[0:1], v21, v13
	v_addc_co_u32_e64 v98, s[0:1], v22, v14, s[0:1]
	global_load_dwordx2 v[21:22], v[5:6], off
	global_load_dwordx2 v[56:57], v[7:8], off
	;; [unrolled: 1-line block ×15, first 2 shown]
                                        ; kill: killed $vgpr37 killed $vgpr38
                                        ; kill: killed $vgpr7 killed $vgpr8
                                        ; kill: killed $vgpr67 killed $vgpr68
                                        ; kill: killed $vgpr49 killed $vgpr50
                                        ; kill: killed $vgpr53 killed $vgpr54
                                        ; kill: killed $vgpr43 killed $vgpr44
                                        ; kill: killed $vgpr11 killed $vgpr12
                                        ; kill: killed $vgpr5 killed $vgpr6
                                        ; kill: killed $vgpr65 killed $vgpr66
                                        ; kill: killed $vgpr39 killed $vgpr40
                                        ; kill: killed $vgpr9 killed $vgpr10
                                        ; kill: killed $vgpr73 killed $vgpr74
                                        ; kill: killed $vgpr51 killed $vgpr52
                                        ; kill: killed $vgpr41 killed $vgpr42
                                        ; kill: killed $vgpr47 killed $vgpr48
	global_load_dwordx2 v[11:12], v[75:76], off
	global_load_dwordx2 v[37:38], v[77:78], off
	;; [unrolled: 1-line block ×12, first 2 shown]
.LBB0_13:
	s_or_b64 exec, exec, s[6:7]
	s_waitcnt vmcnt(24)
	v_add_f32_e32 v55, v56, v58
	v_add_f32_e32 v0, v21, v56
	v_fmac_f32_e32 v21, -0.5, v55
	v_sub_f32_e32 v55, v57, v59
	v_mov_b32_e32 v65, v21
	v_fmac_f32_e32 v65, 0xbf5db3d7, v55
	v_fmac_f32_e32 v21, 0x3f5db3d7, v55
	v_add_f32_e32 v55, v22, v57
	v_add_f32_e32 v83, v55, v59
	;; [unrolled: 1-line block ×3, first 2 shown]
	v_sub_f32_e32 v84, v56, v58
	s_waitcnt vmcnt(21)
	v_add_f32_e32 v56, v23, v45
	v_fmac_f32_e32 v22, -0.5, v55
	v_add_f32_e32 v55, v23, v19
	v_fmac_f32_e32 v19, -0.5, v56
	v_add_f32_e32 v0, v0, v58
	v_sub_f32_e32 v56, v24, v46
	v_mov_b32_e32 v57, v19
	s_waitcnt vmcnt(18)
	v_add_f32_e32 v58, v25, v27
	v_fmac_f32_e32 v57, 0xbf5db3d7, v56
	v_fmac_f32_e32 v19, 0x3f5db3d7, v56
	v_add_f32_e32 v56, v25, v17
	v_fmac_f32_e32 v17, -0.5, v58
	v_sub_f32_e32 v58, v26, v28
	v_mov_b32_e32 v59, v17
	s_waitcnt vmcnt(15)
	v_add_f32_e32 v66, v29, v35
	v_fmac_f32_e32 v59, 0xbf5db3d7, v58
	v_fmac_f32_e32 v17, 0x3f5db3d7, v58
	v_add_f32_e32 v58, v15, v35
	v_fmac_f32_e32 v15, -0.5, v66
	;; [unrolled: 8-line block ×7, first 2 shown]
	v_mad_u32_u24 v86, v69, 12, 0
	ds_write2_b32 v86, v0, v65 offset1:1
	v_sub_f32_e32 v0, v44, v48
	v_mov_b32_e32 v65, v9
	v_add_f32_e32 v55, v45, v55
	v_add_f32_e32 v56, v27, v56
	v_fmac_f32_e32 v65, 0xbf5db3d7, v0
	v_fmac_f32_e32 v9, 0x3f5db3d7, v0
	ds_write_b32 v86, v21 offset:8
	v_mad_i32_i24 v0, v71, 12, 0
	v_mad_i32_i24 v21, v72, 12, 0
	s_load_dwordx2 s[4:5], s[4:5], 0x0
	v_add_f32_e32 v58, v29, v58
	v_add_f32_e32 v66, v31, v66
	;; [unrolled: 1-line block ×4, first 2 shown]
	ds_write2_b32 v0, v55, v57 offset1:1
	ds_write_b32 v0, v19 offset:8
	ds_write2_b32 v21, v56, v59 offset1:1
	ds_write_b32 v21, v17 offset:8
	v_mad_i32_i24 v56, v70, 12, 0
	v_mad_i32_i24 v105, v60, 12, 0
	v_mad_i32_i24 v106, v61, 12, 0
	v_mad_i32_i24 v107, v62, 12, 0
	ds_write2_b32 v56, v58, v67 offset1:1
	ds_write_b32 v56, v15 offset:8
	ds_write2_b32 v105, v66, v73 offset1:1
	ds_write_b32 v105, v13 offset:8
	;; [unrolled: 2-line block ×4, first 2 shown]
	v_lshlrev_b32_e32 v5, 3, v60
	v_sub_u32_e32 v68, v105, v5
	v_lshlrev_b32_e32 v5, 3, v61
	v_sub_u32_e32 v73, v106, v5
	v_lshlrev_b32_e32 v5, 3, v62
	v_mad_i32_i24 v108, v63, 12, 0
	v_sub_u32_e32 v74, v107, v5
	v_lshlrev_b32_e32 v5, 3, v63
	v_add_f32_e32 v76, v76, v41
	v_mad_i32_i24 v109, v64, 12, 0
	v_sub_u32_e32 v75, v108, v5
	v_lshlrev_b32_e32 v5, 3, v64
	v_mov_b32_e32 v85, v22
	v_add_f32_e32 v78, v47, v78
	ds_write2_b32 v108, v76, v79 offset1:1
	ds_write_b32 v108, v7 offset:8
	v_lshl_add_u32 v17, v69, 2, 0
	v_lshlrev_b32_e32 v67, 3, v71
	v_sub_u32_e32 v76, v109, v5
	v_lshlrev_b32_e32 v15, 3, v72
	v_lshlrev_b32_e32 v66, 3, v70
	v_fmac_f32_e32 v22, 0xbf5db3d7, v84
	ds_write2_b32 v109, v78, v65 offset1:1
	ds_write_b32 v109, v9 offset:8
	s_waitcnt lgkmcnt(0)
	; wave barrier
	s_waitcnt lgkmcnt(0)
	v_add_u32_e32 v55, 0x800, v17
	v_add_u32_e32 v57, 0x1000, v17
	v_sub_u32_e32 v19, v0, v67
	v_sub_u32_e32 v59, v21, v15
	;; [unrolled: 1-line block ×3, first 2 shown]
	v_add_u32_e32 v58, 0x1400, v17
	v_add_u32_e32 v65, 0xc00, v17
	ds_read_b32 v82, v17
	ds_read_b32 v81, v19
	;; [unrolled: 1-line block ×8, first 2 shown]
	v_add_u32_e32 v78, 0x1800, v17
	ds_read_b32 v5, v76
	ds_read2_b32 v[87:88], v55 offset0:55 offset1:118
	ds_read2_b32 v[89:90], v57 offset0:47 offset1:110
	;; [unrolled: 1-line block ×9, first 2 shown]
	s_waitcnt lgkmcnt(0)
	; wave barrier
	s_waitcnt lgkmcnt(0)
	ds_write_b32 v86, v22 offset:8
	v_add_f32_e32 v22, v24, v20
	v_add_f32_e32 v24, v24, v46
	v_sub_f32_e32 v23, v23, v45
	v_add_f32_e32 v45, v26, v18
	v_add_f32_e32 v26, v26, v28
	v_fmac_f32_e32 v20, -0.5, v24
	v_fmac_f32_e32 v85, 0x3f5db3d7, v84
	v_sub_f32_e32 v25, v25, v27
	v_add_f32_e32 v27, v28, v45
	v_add_f32_e32 v28, v16, v36
	v_add_f32_e32 v36, v30, v36
	v_mov_b32_e32 v24, v20
	v_fmac_f32_e32 v20, 0xbf5db3d7, v23
	v_fmac_f32_e32 v18, -0.5, v26
	ds_write2_b32 v86, v83, v85 offset1:1
	v_add_f32_e32 v22, v46, v22
	v_sub_f32_e32 v29, v35, v29
	v_add_f32_e32 v28, v30, v28
	v_add_f32_e32 v30, v34, v14
	;; [unrolled: 1-line block ×3, first 2 shown]
	v_fmac_f32_e32 v24, 0x3f5db3d7, v23
	ds_write_b32 v0, v20 offset:8
	v_mov_b32_e32 v20, v18
	v_fmac_f32_e32 v18, 0xbf5db3d7, v25
	v_fmac_f32_e32 v16, -0.5, v36
	v_add_f32_e32 v46, v8, v40
	ds_write2_b32 v0, v22, v24 offset1:1
	v_fmac_f32_e32 v20, 0x3f5db3d7, v25
	ds_write_b32 v21, v18 offset:8
	v_mov_b32_e32 v18, v16
	v_fmac_f32_e32 v16, 0xbf5db3d7, v29
	v_fmac_f32_e32 v14, -0.5, v34
	v_sub_f32_e32 v31, v33, v31
	v_add_f32_e32 v30, v32, v30
	v_add_f32_e32 v32, v12, v38
	;; [unrolled: 1-line block ×5, first 2 shown]
	v_sub_f32_e32 v39, v39, v41
	v_add_f32_e32 v41, v46, v42
	v_add_f32_e32 v42, v44, v10
	;; [unrolled: 1-line block ×3, first 2 shown]
	ds_write2_b32 v21, v27, v20 offset1:1
	ds_write_b32 v56, v16 offset:8
	v_mov_b32_e32 v16, v14
	v_sub_f32_e32 v35, v37, v53
	v_add_f32_e32 v37, v6, v52
	v_sub_f32_e32 v45, v51, v49
	v_fmac_f32_e32 v18, 0x3f5db3d7, v29
	v_fmac_f32_e32 v16, 0x3f5db3d7, v31
	v_fmac_f32_e32 v12, -0.5, v33
	v_fmac_f32_e32 v6, -0.5, v38
	;; [unrolled: 1-line block ×4, first 2 shown]
	v_sub_f32_e32 v43, v43, v47
	ds_write2_b32 v56, v28, v18 offset1:1
	ds_write2_b32 v105, v30, v16 offset1:1
	v_fmac_f32_e32 v14, 0xbf5db3d7, v31
	v_mov_b32_e32 v16, v12
	v_mov_b32_e32 v18, v6
	v_fmac_f32_e32 v6, 0xbf5db3d7, v45
	v_mov_b32_e32 v20, v8
	v_mov_b32_e32 v22, v10
	s_movk_i32 s0, 0xab
	v_add_f32_e32 v32, v32, v54
	v_add_f32_e32 v37, v50, v37
	;; [unrolled: 1-line block ×3, first 2 shown]
	v_fmac_f32_e32 v16, 0x3f5db3d7, v35
	v_fmac_f32_e32 v12, 0xbf5db3d7, v35
	;; [unrolled: 1-line block ×7, first 2 shown]
	ds_write_b32 v105, v14 offset:8
	ds_write2_b32 v106, v32, v16 offset1:1
	ds_write_b32 v106, v12 offset:8
	ds_write2_b32 v107, v37, v18 offset1:1
	;; [unrolled: 2-line block ×4, first 2 shown]
	ds_write_b32 v109, v10 offset:8
	v_mul_lo_u16_sdwa v6, v69, s0 dst_sel:DWORD dst_unused:UNUSED_PAD src0_sel:BYTE_0 src1_sel:DWORD
	v_lshrrev_b16_e32 v8, 9, v6
	v_mul_lo_u16_e32 v6, 3, v8
	v_sub_u16_e32 v10, v69, v6
	v_mov_b32_e32 v16, 4
	v_lshlrev_b32_sdwa v6, v16, v10 dst_sel:DWORD dst_unused:UNUSED_PAD src0_sel:DWORD src1_sel:BYTE_0
	s_waitcnt lgkmcnt(0)
	; wave barrier
	s_waitcnt lgkmcnt(0)
	global_load_dwordx4 v[22:25], v6, s[8:9]
	v_mul_lo_u16_sdwa v6, v71, s0 dst_sel:DWORD dst_unused:UNUSED_PAD src0_sel:BYTE_0 src1_sel:DWORD
	v_lshrrev_b16_e32 v6, 9, v6
	v_mul_lo_u16_e32 v12, 3, v6
	v_sub_u16_e32 v12, v71, v12
	v_lshlrev_b32_sdwa v14, v16, v12 dst_sel:DWORD dst_unused:UNUSED_PAD src0_sel:DWORD src1_sel:BYTE_0
	global_load_dwordx4 v[26:29], v14, s[8:9]
	v_mul_lo_u16_sdwa v14, v72, s0 dst_sel:DWORD dst_unused:UNUSED_PAD src0_sel:BYTE_0 src1_sel:DWORD
	v_lshrrev_b16_e32 v14, 9, v14
	v_mul_lo_u16_e32 v18, 3, v14
	v_sub_u16_e32 v20, v72, v18
	v_lshlrev_b32_sdwa v18, v16, v20 dst_sel:DWORD dst_unused:UNUSED_PAD src0_sel:DWORD src1_sel:BYTE_0
	;; [unrolled: 6-line block ×3, first 2 shown]
	s_mov_b32 s0, 0xaaab
	global_load_dwordx4 v[34:37], v18, s[8:9]
	v_mul_u32_u24_sdwa v18, v60, s0 dst_sel:DWORD dst_unused:UNUSED_PAD src0_sel:WORD_0 src1_sel:DWORD
	v_lshrrev_b32_e32 v112, 17, v18
	v_mul_lo_u16_e32 v18, 3, v112
	v_sub_u16_e32 v113, v60, v18
	v_lshlrev_b32_e32 v18, 4, v113
	global_load_dwordx4 v[38:41], v18, s[8:9]
	v_mul_u32_u24_sdwa v18, v61, s0 dst_sel:DWORD dst_unused:UNUSED_PAD src0_sel:WORD_0 src1_sel:DWORD
	v_lshrrev_b32_e32 v114, 17, v18
	v_mul_lo_u16_e32 v18, 3, v114
	v_sub_u16_e32 v115, v61, v18
	v_lshlrev_b32_e32 v18, 4, v115
	global_load_dwordx4 v[42:45], v18, s[8:9]
	v_mul_u32_u24_sdwa v18, v62, s0 dst_sel:DWORD dst_unused:UNUSED_PAD src0_sel:WORD_0 src1_sel:DWORD
	v_lshrrev_b32_e32 v116, 17, v18
	v_mul_lo_u16_e32 v18, 3, v116
	v_sub_u16_e32 v117, v62, v18
	v_lshlrev_b32_e32 v18, 4, v117
	global_load_dwordx4 v[46:49], v18, s[8:9]
	v_mul_u32_u24_sdwa v18, v63, s0 dst_sel:DWORD dst_unused:UNUSED_PAD src0_sel:WORD_0 src1_sel:DWORD
	v_lshrrev_b32_e32 v118, 17, v18
	v_mul_lo_u16_e32 v18, 3, v118
	v_sub_u16_e32 v119, v63, v18
	v_lshlrev_b32_e32 v18, 4, v119
	global_load_dwordx4 v[50:53], v18, s[8:9]
	v_mul_u32_u24_sdwa v18, v64, s0 dst_sel:DWORD dst_unused:UNUSED_PAD src0_sel:WORD_0 src1_sel:DWORD
	v_lshrrev_b32_e32 v120, 17, v18
	v_mul_lo_u16_e32 v18, 3, v120
	v_sub_u16_e32 v121, v64, v18
	v_lshlrev_b32_e32 v18, 4, v121
	global_load_dwordx4 v[83:86], v18, s[8:9]
	ds_read2_b32 v[105:106], v55 offset0:55 offset1:118
	ds_read2_b32 v[107:108], v57 offset0:47 offset1:110
	;; [unrolled: 1-line block ×3, first 2 shown]
	v_mul_u32_u24_e32 v8, 36, v8
	v_mul_u32_u24_e32 v6, 36, v6
	s_mov_b32 s0, 0xe38f
	s_waitcnt vmcnt(8) lgkmcnt(2)
	v_mul_f32_e32 v122, v105, v23
	v_mul_f32_e32 v18, v87, v23
	v_fmac_f32_e32 v122, v87, v22
	v_fma_f32 v87, v105, v22, -v18
	ds_read2_b32 v[22:23], v55 offset0:181 offset1:244
	s_waitcnt lgkmcnt(2)
	v_mul_f32_e32 v105, v108, v25
	v_mul_f32_e32 v18, v90, v25
	v_fmac_f32_e32 v105, v90, v24
	v_fma_f32 v90, v108, v24, -v18
	s_waitcnt vmcnt(7)
	v_mul_f32_e32 v108, v106, v27
	v_mul_f32_e32 v18, v88, v27
	ds_read2_b32 v[24:25], v58 offset0:43 offset1:106
	v_fmac_f32_e32 v108, v88, v26
	v_fma_f32 v26, v106, v26, -v18
	s_waitcnt lgkmcnt(2)
	v_mul_f32_e32 v27, v109, v29
	v_mul_f32_e32 v18, v91, v29
	v_fmac_f32_e32 v27, v91, v28
	v_fma_f32 v28, v109, v28, -v18
	s_waitcnt vmcnt(6)
	v_mul_f32_e32 v29, v110, v33
	v_mul_f32_e32 v18, v92, v33
	v_fmac_f32_e32 v29, v92, v32
	v_fma_f32 v32, v110, v32, -v18
	s_waitcnt lgkmcnt(1)
	v_mul_f32_e32 v33, v22, v31
	v_mul_f32_e32 v18, v93, v31
	v_fmac_f32_e32 v33, v93, v30
	v_fma_f32 v30, v22, v30, -v18
	s_waitcnt vmcnt(5)
	v_mul_f32_e32 v31, v23, v35
	v_mul_f32_e32 v18, v94, v35
	v_fmac_f32_e32 v31, v94, v34
	v_fma_f32 v34, v23, v34, -v18
	s_waitcnt lgkmcnt(0)
	v_mul_f32_e32 v35, v24, v37
	v_mul_f32_e32 v18, v95, v37
	ds_read2_b32 v[22:23], v65 offset0:51 offset1:114
	v_fmac_f32_e32 v35, v95, v36
	v_fma_f32 v36, v24, v36, -v18
	s_waitcnt vmcnt(4)
	v_mul_f32_e32 v37, v25, v41
	v_mul_f32_e32 v18, v96, v41
	v_fmac_f32_e32 v37, v96, v40
	v_fma_f32 v40, v25, v40, -v18
	ds_read2_b32 v[24:25], v58 offset0:169 offset1:232
	s_waitcnt lgkmcnt(1)
	v_mul_f32_e32 v41, v22, v39
	v_mul_f32_e32 v18, v97, v39
	v_fmac_f32_e32 v41, v97, v38
	v_fma_f32 v38, v22, v38, -v18
	s_waitcnt vmcnt(3)
	v_mul_f32_e32 v39, v23, v43
	v_mul_f32_e32 v18, v98, v43
	v_fmac_f32_e32 v39, v98, v42
	v_fma_f32 v42, v23, v42, -v18
	s_waitcnt lgkmcnt(0)
	v_mul_f32_e32 v43, v24, v45
	v_mul_f32_e32 v18, v99, v45
	ds_read2_b32 v[22:23], v65 offset0:177 offset1:240
	v_fmac_f32_e32 v43, v99, v44
	v_fma_f32 v44, v24, v44, -v18
	s_waitcnt vmcnt(2)
	v_mul_f32_e32 v45, v25, v49
	v_mul_f32_e32 v18, v100, v49
	v_fmac_f32_e32 v45, v100, v48
	v_fma_f32 v48, v25, v48, -v18
	ds_read2_b32 v[24:25], v78 offset0:39 offset1:102
	v_mul_f32_e32 v18, v101, v47
	s_waitcnt lgkmcnt(1)
	v_mul_f32_e32 v49, v22, v47
	v_fma_f32 v22, v22, v46, -v18
	s_waitcnt vmcnt(1)
	v_mul_f32_e32 v18, v102, v51
	v_fmac_f32_e32 v49, v101, v46
	v_mul_f32_e32 v46, v23, v51
	v_fma_f32 v23, v23, v50, -v18
	v_mul_f32_e32 v18, v103, v53
	s_waitcnt lgkmcnt(0)
	v_mul_f32_e32 v47, v24, v53
	v_fma_f32 v24, v24, v52, -v18
	s_waitcnt vmcnt(0)
	v_mul_f32_e32 v18, v89, v84
	v_fmac_f32_e32 v46, v102, v50
	v_mul_f32_e32 v50, v107, v84
	v_fma_f32 v51, v107, v83, -v18
	v_mul_f32_e32 v18, v104, v86
	v_fmac_f32_e32 v50, v89, v83
	v_mul_f32_e32 v83, v25, v86
	v_fma_f32 v25, v25, v85, -v18
	v_add_f32_e32 v18, v122, v105
	v_fmac_f32_e32 v47, v103, v52
	v_add_f32_e32 v52, v82, v122
	v_fmac_f32_e32 v82, -0.5, v18
	v_mov_b32_e32 v18, 2
	v_lshlrev_b32_sdwa v10, v18, v10 dst_sel:DWORD dst_unused:UNUSED_PAD src0_sel:DWORD src1_sel:BYTE_0
	v_add3_u32 v84, 0, v8, v10
	v_add_f32_e32 v8, v52, v105
	v_sub_f32_e32 v10, v87, v90
	v_mov_b32_e32 v52, v82
	v_fmac_f32_e32 v52, 0xbf5db3d7, v10
	v_fmac_f32_e32 v82, 0x3f5db3d7, v10
	v_add_f32_e32 v10, v108, v27
	v_fmac_f32_e32 v83, v104, v85
	ds_read_b32 v85, v17
	ds_read_b32 v86, v19
	;; [unrolled: 1-line block ×9, first 2 shown]
	s_waitcnt lgkmcnt(0)
	; wave barrier
	s_waitcnt lgkmcnt(0)
	ds_write2_b32 v84, v8, v52 offset1:3
	v_add_f32_e32 v8, v81, v108
	v_fmac_f32_e32 v81, -0.5, v10
	v_lshlrev_b32_sdwa v10, v18, v12 dst_sel:DWORD dst_unused:UNUSED_PAD src0_sel:DWORD src1_sel:BYTE_0
	ds_write_b32 v84, v82 offset:24
	v_add3_u32 v82, 0, v6, v10
	v_add_f32_e32 v6, v8, v27
	v_sub_f32_e32 v8, v26, v28
	v_mov_b32_e32 v10, v81
	v_fmac_f32_e32 v10, 0xbf5db3d7, v8
	v_fmac_f32_e32 v81, 0x3f5db3d7, v8
	v_add_f32_e32 v8, v33, v29
	ds_write2_b32 v82, v6, v10 offset1:3
	v_add_f32_e32 v6, v80, v33
	v_fmac_f32_e32 v80, -0.5, v8
	v_mul_u32_u24_e32 v8, 36, v14
	v_lshlrev_b32_sdwa v10, v18, v20 dst_sel:DWORD dst_unused:UNUSED_PAD src0_sel:DWORD src1_sel:BYTE_0
	ds_write_b32 v82, v81 offset:24
	v_add3_u32 v81, 0, v8, v10
	v_sub_f32_e32 v8, v30, v32
	v_mov_b32_e32 v10, v80
	v_add_f32_e32 v6, v6, v29
	v_fmac_f32_e32 v10, 0xbf5db3d7, v8
	v_fmac_f32_e32 v80, 0x3f5db3d7, v8
	v_add_f32_e32 v8, v31, v35
	ds_write2_b32 v81, v6, v10 offset1:3
	v_add_f32_e32 v6, v79, v31
	v_fmac_f32_e32 v79, -0.5, v8
	v_mul_u32_u24_e32 v8, 36, v54
	v_lshlrev_b32_sdwa v10, v18, v111 dst_sel:DWORD dst_unused:UNUSED_PAD src0_sel:DWORD src1_sel:BYTE_0
	v_add3_u32 v54, 0, v8, v10
	v_sub_f32_e32 v8, v34, v36
	v_mov_b32_e32 v10, v79
	v_add_f32_e32 v6, v6, v35
	v_fmac_f32_e32 v10, 0xbf5db3d7, v8
	v_fmac_f32_e32 v79, 0x3f5db3d7, v8
	v_add_f32_e32 v8, v41, v37
	ds_write_b32 v81, v80 offset:24
	ds_write2_b32 v54, v6, v10 offset1:3
	v_add_f32_e32 v6, v13, v41
	v_fmac_f32_e32 v13, -0.5, v8
	v_mul_u32_u24_e32 v8, 36, v112
	v_lshlrev_b32_e32 v10, 2, v113
	ds_write_b32 v54, v79 offset:24
	v_add3_u32 v79, 0, v8, v10
	v_sub_f32_e32 v8, v38, v40
	v_mov_b32_e32 v10, v13
	v_add_f32_e32 v6, v6, v37
	v_fmac_f32_e32 v10, 0xbf5db3d7, v8
	v_fmac_f32_e32 v13, 0x3f5db3d7, v8
	v_add_f32_e32 v8, v39, v43
	ds_write2_b32 v79, v6, v10 offset1:3
	v_add_f32_e32 v6, v11, v39
	v_fmac_f32_e32 v11, -0.5, v8
	v_mul_u32_u24_e32 v8, 36, v114
	v_lshlrev_b32_e32 v10, 2, v115
	v_add3_u32 v80, 0, v8, v10
	v_sub_f32_e32 v8, v42, v44
	v_mov_b32_e32 v10, v11
	v_add_f32_e32 v6, v6, v43
	v_fmac_f32_e32 v10, 0xbf5db3d7, v8
	v_fmac_f32_e32 v11, 0x3f5db3d7, v8
	v_add_f32_e32 v8, v49, v45
	ds_write_b32 v79, v13 offset:24
	ds_write2_b32 v80, v6, v10 offset1:3
	v_add_f32_e32 v6, v9, v49
	v_fmac_f32_e32 v9, -0.5, v8
	v_mul_u32_u24_e32 v8, 36, v116
	v_lshlrev_b32_e32 v10, 2, v117
	v_add3_u32 v110, 0, v8, v10
	v_sub_f32_e32 v8, v22, v48
	v_mov_b32_e32 v10, v9
	v_add_f32_e32 v6, v6, v45
	v_fmac_f32_e32 v10, 0xbf5db3d7, v8
	v_fmac_f32_e32 v9, 0x3f5db3d7, v8
	v_add_f32_e32 v8, v46, v47
	ds_write_b32 v80, v11 offset:24
	ds_write2_b32 v110, v6, v10 offset1:3
	v_add_f32_e32 v6, v7, v46
	v_fmac_f32_e32 v7, -0.5, v8
	ds_write_b32 v110, v9 offset:24
	v_mul_u32_u24_e32 v8, 36, v118
	v_lshlrev_b32_e32 v9, 2, v119
	v_add3_u32 v111, 0, v8, v9
	v_sub_f32_e32 v8, v23, v24
	v_mov_b32_e32 v9, v7
	v_add_f32_e32 v6, v6, v47
	v_fmac_f32_e32 v9, 0xbf5db3d7, v8
	v_fmac_f32_e32 v7, 0x3f5db3d7, v8
	v_add_f32_e32 v8, v50, v83
	ds_write2_b32 v111, v6, v9 offset1:3
	v_add_f32_e32 v6, v5, v50
	v_fmac_f32_e32 v5, -0.5, v8
	ds_write_b32 v111, v7 offset:24
	v_mul_u32_u24_e32 v7, 36, v120
	v_lshlrev_b32_e32 v8, 2, v121
	v_add3_u32 v112, 0, v7, v8
	v_sub_f32_e32 v7, v51, v25
	v_mov_b32_e32 v8, v5
	v_add_f32_e32 v6, v6, v83
	v_fmac_f32_e32 v8, 0xbf5db3d7, v7
	ds_write2_b32 v112, v6, v8 offset1:3
	v_add_f32_e32 v6, v85, v87
	v_add_f32_e32 v113, v6, v90
	;; [unrolled: 1-line block ×3, first 2 shown]
	v_fmac_f32_e32 v85, -0.5, v6
	v_sub_f32_e32 v105, v122, v105
	v_mov_b32_e32 v114, v85
	v_fmac_f32_e32 v5, 0x3f5db3d7, v7
	v_fmac_f32_e32 v114, 0x3f5db3d7, v105
	;; [unrolled: 1-line block ×3, first 2 shown]
	ds_write_b32 v112, v5 offset:24
	s_waitcnt lgkmcnt(0)
	; wave barrier
	s_waitcnt lgkmcnt(0)
	ds_read_b32 v20, v17
	ds_read_b32 v14, v19
	;; [unrolled: 1-line block ×9, first 2 shown]
	ds_read2_b32 v[52:53], v55 offset0:55 offset1:118
	ds_read2_b32 v[5:6], v57 offset0:47 offset1:110
	;; [unrolled: 1-line block ×9, first 2 shown]
	s_waitcnt lgkmcnt(0)
	; wave barrier
	s_waitcnt lgkmcnt(0)
	ds_write2_b32 v84, v113, v114 offset1:3
	ds_write_b32 v84, v85 offset:24
	v_add_f32_e32 v84, v86, v26
	v_add_f32_e32 v26, v26, v28
	v_fmac_f32_e32 v86, -0.5, v26
	v_sub_f32_e32 v26, v108, v27
	v_mov_b32_e32 v27, v86
	v_add_f32_e32 v84, v84, v28
	v_fmac_f32_e32 v27, 0x3f5db3d7, v26
	ds_write2_b32 v82, v84, v27 offset1:3
	v_add_f32_e32 v27, v30, v32
	v_fmac_f32_e32 v86, 0xbf5db3d7, v26
	v_add_f32_e32 v26, v101, v30
	v_fmac_f32_e32 v101, -0.5, v27
	v_sub_f32_e32 v27, v33, v29
	v_mov_b32_e32 v28, v101
	v_add_f32_e32 v26, v26, v32
	v_fmac_f32_e32 v28, 0x3f5db3d7, v27
	v_fmac_f32_e32 v101, 0xbf5db3d7, v27
	v_add_f32_e32 v27, v34, v36
	ds_write_b32 v82, v86 offset:24
	ds_write2_b32 v81, v26, v28 offset1:3
	v_add_f32_e32 v26, v102, v34
	v_fmac_f32_e32 v102, -0.5, v27
	v_sub_f32_e32 v27, v31, v35
	v_mov_b32_e32 v28, v102
	v_add_f32_e32 v26, v26, v36
	v_fmac_f32_e32 v28, 0x3f5db3d7, v27
	v_fmac_f32_e32 v102, 0xbf5db3d7, v27
	v_add_f32_e32 v27, v38, v40
	ds_write_b32 v81, v101 offset:24
	ds_write2_b32 v54, v26, v28 offset1:3
	v_add_f32_e32 v26, v103, v38
	v_fmac_f32_e32 v103, -0.5, v27
	v_sub_f32_e32 v27, v41, v37
	v_mov_b32_e32 v28, v103
	v_add_f32_e32 v29, v42, v44
	v_fmac_f32_e32 v28, 0x3f5db3d7, v27
	v_fmac_f32_e32 v103, 0xbf5db3d7, v27
	v_add_f32_e32 v27, v104, v42
	v_fmac_f32_e32 v104, -0.5, v29
	v_sub_f32_e32 v29, v39, v43
	v_mov_b32_e32 v30, v104
	v_fmac_f32_e32 v30, 0x3f5db3d7, v29
	v_fmac_f32_e32 v104, 0xbf5db3d7, v29
	v_add_f32_e32 v29, v106, v22
	v_add_f32_e32 v22, v22, v48
	v_fmac_f32_e32 v106, -0.5, v22
	v_sub_f32_e32 v22, v49, v45
	v_mov_b32_e32 v31, v106
	v_fmac_f32_e32 v31, 0x3f5db3d7, v22
	v_fmac_f32_e32 v106, 0xbf5db3d7, v22
	v_add_f32_e32 v22, v107, v23
	v_add_f32_e32 v23, v23, v24
	v_fmac_f32_e32 v107, -0.5, v23
	v_add_f32_e32 v22, v22, v24
	v_sub_f32_e32 v23, v46, v47
	v_mov_b32_e32 v24, v107
	v_fmac_f32_e32 v24, 0x3f5db3d7, v23
	v_fmac_f32_e32 v107, 0xbf5db3d7, v23
	v_add_f32_e32 v23, v109, v51
	v_add_f32_e32 v23, v23, v25
	;; [unrolled: 1-line block ×3, first 2 shown]
	v_fmac_f32_e32 v109, -0.5, v25
	v_sub_f32_e32 v25, v50, v83
	v_mov_b32_e32 v32, v109
	v_fmac_f32_e32 v32, 0x3f5db3d7, v25
	v_mov_b32_e32 v36, 57
	v_add_f32_e32 v26, v26, v40
	v_add_f32_e32 v27, v27, v44
	;; [unrolled: 1-line block ×3, first 2 shown]
	v_fmac_f32_e32 v109, 0xbf5db3d7, v25
	ds_write_b32 v54, v102 offset:24
	ds_write2_b32 v79, v26, v28 offset1:3
	ds_write_b32 v79, v103 offset:24
	ds_write2_b32 v80, v27, v30 offset1:3
	;; [unrolled: 2-line block ×5, first 2 shown]
	ds_write_b32 v112, v109 offset:24
	v_mul_lo_u16_sdwa v22, v69, v36 dst_sel:DWORD dst_unused:UNUSED_PAD src0_sel:BYTE_0 src1_sel:DWORD
	v_mul_lo_u16_sdwa v32, v72, v36 dst_sel:DWORD dst_unused:UNUSED_PAD src0_sel:BYTE_0 src1_sel:DWORD
	v_lshrrev_b16_e32 v54, 9, v22
	v_lshrrev_b16_e32 v106, 9, v32
	v_mul_lo_u16_e32 v22, 9, v54
	v_mul_lo_u16_e32 v32, 9, v106
	v_sub_u16_e32 v105, v69, v22
	v_sub_u16_e32 v107, v72, v32
	v_lshlrev_b32_sdwa v22, v16, v105 dst_sel:DWORD dst_unused:UNUSED_PAD src0_sel:DWORD src1_sel:BYTE_0
	v_lshlrev_b32_sdwa v32, v16, v107 dst_sel:DWORD dst_unused:UNUSED_PAD src0_sel:DWORD src1_sel:BYTE_0
	s_waitcnt lgkmcnt(0)
	; wave barrier
	s_waitcnt lgkmcnt(0)
	global_load_dwordx4 v[24:27], v22, s[8:9] offset:48
	v_mul_u32_u24_sdwa v40, v60, s0 dst_sel:DWORD dst_unused:UNUSED_PAD src0_sel:WORD_0 src1_sel:DWORD
	global_load_dwordx4 v[32:35], v32, s[8:9] offset:48
	v_mul_lo_u16_sdwa v22, v71, v36 dst_sel:DWORD dst_unused:UNUSED_PAD src0_sel:BYTE_0 src1_sel:DWORD
	v_lshrrev_b16_e32 v22, 9, v22
	v_mul_lo_u16_e32 v23, 9, v22
	v_sub_u16_e32 v23, v71, v23
	v_lshlrev_b32_sdwa v28, v16, v23 dst_sel:DWORD dst_unused:UNUSED_PAD src0_sel:DWORD src1_sel:BYTE_0
	global_load_dwordx4 v[28:31], v28, s[8:9] offset:48
	v_mul_lo_u16_sdwa v36, v70, v36 dst_sel:DWORD dst_unused:UNUSED_PAD src0_sel:BYTE_0 src1_sel:DWORD
	v_lshrrev_b16_e32 v108, 9, v36
	v_mul_lo_u16_e32 v36, 9, v108
	v_sub_u16_e32 v109, v70, v36
	v_lshlrev_b32_sdwa v36, v16, v109 dst_sel:DWORD dst_unused:UNUSED_PAD src0_sel:DWORD src1_sel:BYTE_0
	global_load_dwordx4 v[36:39], v36, s[8:9] offset:48
	v_lshrrev_b32_e32 v110, 19, v40
	v_mul_lo_u16_e32 v40, 9, v110
	v_sub_u16_e32 v111, v60, v40
	v_lshlrev_b32_e32 v40, 4, v111
	global_load_dwordx4 v[40:43], v40, s[8:9] offset:48
	v_mul_u32_u24_sdwa v44, v61, s0 dst_sel:DWORD dst_unused:UNUSED_PAD src0_sel:WORD_0 src1_sel:DWORD
	v_lshrrev_b32_e32 v112, 19, v44
	v_mul_lo_u16_e32 v44, 9, v112
	v_sub_u16_e32 v113, v61, v44
	v_lshlrev_b32_e32 v44, 4, v113
	global_load_dwordx4 v[44:47], v44, s[8:9] offset:48
	v_mul_u32_u24_sdwa v48, v62, s0 dst_sel:DWORD dst_unused:UNUSED_PAD src0_sel:WORD_0 src1_sel:DWORD
	;; [unrolled: 6-line block ×3, first 2 shown]
	v_lshrrev_b32_e32 v116, 19, v79
	v_mul_u32_u24_sdwa v83, v64, s0 dst_sel:DWORD dst_unused:UNUSED_PAD src0_sel:WORD_0 src1_sel:DWORD
	v_mul_lo_u16_e32 v79, 9, v116
	v_lshrrev_b32_e32 v118, 19, v83
	v_sub_u16_e32 v117, v63, v79
	v_mul_lo_u16_e32 v83, 9, v118
	v_lshlrev_b32_e32 v79, 4, v117
	global_load_dwordx4 v[79:82], v79, s[8:9] offset:48
	v_sub_u16_e32 v119, v64, v83
	v_lshlrev_b32_e32 v83, 4, v119
	global_load_dwordx4 v[83:86], v83, s[8:9] offset:48
	ds_read2_b32 v[101:102], v55 offset0:55 offset1:118
	ds_read2_b32 v[103:104], v57 offset0:47 offset1:110
	s_movk_i32 s0, 0x2f69
	s_waitcnt vmcnt(8) lgkmcnt(1)
	v_mul_f32_e32 v120, v101, v25
	v_mul_f32_e32 v25, v52, v25
	v_fmac_f32_e32 v120, v52, v24
	v_fma_f32 v52, v101, v24, -v25
	ds_read2_b32 v[24:25], v57 offset0:173 offset1:236
	s_waitcnt lgkmcnt(1)
	v_mul_f32_e32 v101, v104, v27
	v_fmac_f32_e32 v101, v6, v26
	v_mul_f32_e32 v6, v6, v27
	v_fma_f32 v6, v104, v26, -v6
	s_waitcnt vmcnt(6)
	v_mul_f32_e32 v121, v102, v29
	v_mul_f32_e32 v26, v53, v29
	v_fmac_f32_e32 v121, v53, v28
	v_fma_f32 v53, v102, v28, -v26
	s_waitcnt lgkmcnt(0)
	v_mul_f32_e32 v122, v24, v31
	v_mul_f32_e32 v26, v87, v31
	v_fmac_f32_e32 v122, v87, v30
	v_fma_f32 v30, v24, v30, -v26
	ds_read2_b32 v[26:27], v55 offset0:181 offset1:244
	v_mul_f32_e32 v31, v25, v35
	v_mul_f32_e32 v24, v88, v35
	v_fmac_f32_e32 v31, v88, v34
	v_fma_f32 v34, v25, v34, -v24
	s_waitcnt lgkmcnt(0)
	v_mul_f32_e32 v35, v26, v33
	v_mul_f32_e32 v24, v89, v33
	v_fmac_f32_e32 v35, v89, v32
	v_fma_f32 v32, v26, v32, -v24
	ds_read2_b32 v[24:25], v58 offset0:43 offset1:106
	s_waitcnt vmcnt(5)
	v_mul_f32_e32 v33, v27, v37
	v_mul_f32_e32 v26, v90, v37
	v_fmac_f32_e32 v33, v90, v36
	v_fma_f32 v36, v27, v36, -v26
	s_waitcnt lgkmcnt(0)
	v_mul_f32_e32 v37, v24, v39
	v_mul_f32_e32 v26, v91, v39
	v_fmac_f32_e32 v37, v91, v38
	v_fma_f32 v38, v24, v38, -v26
	ds_read2_b32 v[26:27], v65 offset0:51 offset1:114
	s_waitcnt vmcnt(4)
	;; [unrolled: 11-line block ×5, first 2 shown]
	v_mul_f32_e32 v49, v27, v80
	v_mul_f32_e32 v26, v98, v80
	v_fmac_f32_e32 v49, v98, v79
	v_fma_f32 v79, v27, v79, -v26
	s_waitcnt lgkmcnt(0)
	v_mul_f32_e32 v80, v24, v82
	v_mul_f32_e32 v26, v99, v82
	s_waitcnt vmcnt(0)
	v_mul_f32_e32 v82, v103, v84
	v_fmac_f32_e32 v82, v5, v83
	v_mul_f32_e32 v5, v5, v84
	v_fmac_f32_e32 v80, v99, v81
	v_fma_f32 v81, v24, v81, -v26
	v_fma_f32 v83, v103, v83, -v5
	v_mul_f32_e32 v84, v25, v86
	v_mul_f32_e32 v5, v100, v86
	v_add_f32_e32 v24, v120, v101
	v_fmac_f32_e32 v84, v100, v85
	v_fma_f32 v85, v25, v85, -v5
	v_add_f32_e32 v5, v20, v120
	v_fmac_f32_e32 v20, -0.5, v24
	v_mul_u32_u24_e32 v24, 0x6c, v54
	v_lshlrev_b32_sdwa v25, v18, v105 dst_sel:DWORD dst_unused:UNUSED_PAD src0_sel:DWORD src1_sel:BYTE_0
	v_add3_u32 v54, 0, v24, v25
	v_sub_f32_e32 v24, v52, v6
	v_mov_b32_e32 v25, v20
	v_add_f32_e32 v5, v5, v101
	v_fmac_f32_e32 v25, 0xbf5db3d7, v24
	v_fmac_f32_e32 v20, 0x3f5db3d7, v24
	v_add_f32_e32 v24, v121, v122
	ds_read_b32 v86, v17
	ds_read_b32 v87, v19
	;; [unrolled: 1-line block ×9, first 2 shown]
	s_waitcnt lgkmcnt(0)
	; wave barrier
	s_waitcnt lgkmcnt(0)
	ds_write2_b32 v54, v5, v25 offset1:9
	v_add_f32_e32 v5, v14, v121
	v_fmac_f32_e32 v14, -0.5, v24
	ds_write_b32 v54, v20 offset:72
	v_mul_u32_u24_e32 v20, 0x6c, v22
	v_lshlrev_b32_sdwa v22, v18, v23 dst_sel:DWORD dst_unused:UNUSED_PAD src0_sel:DWORD src1_sel:BYTE_0
	v_add3_u32 v95, 0, v20, v22
	v_sub_f32_e32 v20, v53, v30
	v_mov_b32_e32 v22, v14
	v_add_f32_e32 v5, v5, v122
	v_fmac_f32_e32 v22, 0xbf5db3d7, v20
	v_fmac_f32_e32 v14, 0x3f5db3d7, v20
	v_add_f32_e32 v20, v35, v31
	ds_write2_b32 v95, v5, v22 offset1:9
	v_add_f32_e32 v5, v13, v35
	v_fmac_f32_e32 v13, -0.5, v20
	ds_write_b32 v95, v14 offset:72
	v_mul_u32_u24_e32 v14, 0x6c, v106
	v_lshlrev_b32_sdwa v20, v18, v107 dst_sel:DWORD dst_unused:UNUSED_PAD src0_sel:DWORD src1_sel:BYTE_0
	v_add3_u32 v96, 0, v14, v20
	v_sub_f32_e32 v14, v32, v34
	v_mov_b32_e32 v20, v13
	v_add_f32_e32 v5, v5, v31
	v_fmac_f32_e32 v20, 0xbf5db3d7, v14
	v_fmac_f32_e32 v13, 0x3f5db3d7, v14
	v_add_f32_e32 v14, v33, v37
	;; [unrolled: 13-line block ×3, first 2 shown]
	ds_write2_b32 v97, v5, v14 offset1:9
	v_add_f32_e32 v5, v11, v43
	v_fmac_f32_e32 v11, -0.5, v13
	ds_write_b32 v97, v12 offset:72
	v_mul_u32_u24_e32 v12, 0x6c, v110
	v_lshlrev_b32_e32 v13, 2, v111
	v_add3_u32 v98, 0, v12, v13
	v_sub_f32_e32 v12, v40, v42
	v_mov_b32_e32 v13, v11
	v_add_f32_e32 v5, v5, v39
	v_fmac_f32_e32 v13, 0xbf5db3d7, v12
	v_fmac_f32_e32 v11, 0x3f5db3d7, v12
	v_add_f32_e32 v12, v41, v45
	ds_write2_b32 v98, v5, v13 offset1:9
	v_add_f32_e32 v5, v10, v41
	v_fmac_f32_e32 v10, -0.5, v12
	ds_write_b32 v98, v11 offset:72
	v_mul_u32_u24_e32 v11, 0x6c, v112
	v_lshlrev_b32_e32 v12, 2, v113
	v_add3_u32 v107, 0, v11, v12
	v_sub_f32_e32 v11, v44, v46
	v_mov_b32_e32 v12, v10
	v_add_f32_e32 v5, v5, v45
	v_fmac_f32_e32 v12, 0xbf5db3d7, v11
	v_fmac_f32_e32 v10, 0x3f5db3d7, v11
	v_add_f32_e32 v11, v51, v47
	;; [unrolled: 13-line block ×4, first 2 shown]
	ds_write2_b32 v109, v5, v10 offset1:9
	v_add_f32_e32 v5, v7, v82
	v_fmac_f32_e32 v7, -0.5, v9
	ds_write_b32 v109, v8 offset:72
	v_mul_u32_u24_e32 v8, 0x6c, v118
	v_lshlrev_b32_e32 v9, 2, v119
	v_add3_u32 v110, 0, v8, v9
	v_sub_f32_e32 v8, v83, v85
	v_mov_b32_e32 v9, v7
	v_add_f32_e32 v5, v5, v84
	v_fmac_f32_e32 v9, 0xbf5db3d7, v8
	ds_write2_b32 v110, v5, v9 offset1:9
	v_add_f32_e32 v5, v86, v52
	v_add_f32_e32 v111, v5, v6
	;; [unrolled: 1-line block ×3, first 2 shown]
	v_fmac_f32_e32 v86, -0.5, v5
	v_sub_f32_e32 v52, v120, v101
	v_mov_b32_e32 v112, v86
	v_fmac_f32_e32 v112, 0x3f5db3d7, v52
	v_fmac_f32_e32 v86, 0xbf5db3d7, v52
	v_add_f32_e32 v52, v87, v53
	v_add_f32_e32 v52, v52, v30
	;; [unrolled: 1-line block ×3, first 2 shown]
	v_fmac_f32_e32 v87, -0.5, v30
	v_sub_f32_e32 v30, v121, v122
	v_mov_b32_e32 v53, v87
	v_fmac_f32_e32 v53, 0x3f5db3d7, v30
	v_fmac_f32_e32 v87, 0xbf5db3d7, v30
	v_add_f32_e32 v30, v88, v32
	v_add_f32_e32 v32, v32, v34
	v_fmac_f32_e32 v88, -0.5, v32
	v_sub_f32_e32 v31, v35, v31
	v_mov_b32_e32 v32, v88
	v_fmac_f32_e32 v7, 0x3f5db3d7, v8
	v_add_f32_e32 v30, v30, v34
	v_fmac_f32_e32 v32, 0x3f5db3d7, v31
	v_fmac_f32_e32 v88, 0xbf5db3d7, v31
	v_add_f32_e32 v31, v36, v38
	ds_write_b32 v110, v7 offset:72
	s_waitcnt lgkmcnt(0)
	; wave barrier
	s_waitcnt lgkmcnt(0)
	ds_read_b32 v29, v17
	ds_read_b32 v28, v19
	;; [unrolled: 1-line block ×9, first 2 shown]
	ds_read2_b32 v[99:100], v55 offset0:55 offset1:118
	ds_read2_b32 v[5:6], v57 offset0:47 offset1:110
	ds_read2_b32 v[101:102], v57 offset0:173 offset1:236
	ds_read2_b32 v[103:104], v55 offset0:181 offset1:244
	ds_read2_b32 v[105:106], v58 offset0:43 offset1:106
	ds_read2_b32 v[13:14], v65 offset0:51 offset1:114
	ds_read2_b32 v[11:12], v58 offset0:169 offset1:232
	ds_read2_b32 v[9:10], v65 offset0:177 offset1:240
	ds_read2_b32 v[7:8], v78 offset0:39 offset1:102
	s_waitcnt lgkmcnt(0)
	; wave barrier
	s_waitcnt lgkmcnt(0)
	ds_write2_b32 v54, v111, v112 offset1:9
	ds_write_b32 v54, v86 offset:72
	ds_write2_b32 v95, v52, v53 offset1:9
	ds_write_b32 v95, v87 offset:72
	ds_write2_b32 v96, v30, v32 offset1:9
	v_add_f32_e32 v30, v89, v36
	v_fmac_f32_e32 v89, -0.5, v31
	v_sub_f32_e32 v31, v33, v37
	v_mov_b32_e32 v32, v89
	v_add_f32_e32 v30, v30, v38
	v_fmac_f32_e32 v32, 0x3f5db3d7, v31
	v_fmac_f32_e32 v89, 0xbf5db3d7, v31
	v_add_f32_e32 v31, v40, v42
	ds_write_b32 v96, v88 offset:72
	ds_write2_b32 v97, v30, v32 offset1:9
	v_add_f32_e32 v30, v90, v40
	v_fmac_f32_e32 v90, -0.5, v31
	v_sub_f32_e32 v31, v43, v39
	v_mov_b32_e32 v32, v90
	v_add_f32_e32 v33, v44, v46
	v_fmac_f32_e32 v32, 0x3f5db3d7, v31
	v_fmac_f32_e32 v90, 0xbf5db3d7, v31
	v_add_f32_e32 v31, v91, v44
	v_fmac_f32_e32 v91, -0.5, v33
	v_sub_f32_e32 v33, v41, v45
	v_mov_b32_e32 v34, v91
	v_add_f32_e32 v35, v48, v50
	v_fmac_f32_e32 v34, 0x3f5db3d7, v33
	v_fmac_f32_e32 v91, 0xbf5db3d7, v33
	;; [unrolled: 7-line block ×4, first 2 shown]
	v_add_f32_e32 v37, v94, v83
	v_fmac_f32_e32 v94, -0.5, v39
	v_mul_u32_u24_sdwa v54, v60, s0 dst_sel:DWORD dst_unused:UNUSED_PAD src0_sel:WORD_0 src1_sel:DWORD
	v_sub_f32_e32 v39, v82, v84
	v_mov_b32_e32 v40, v94
	v_sub_u16_sdwa v79, v60, v54 dst_sel:DWORD dst_unused:UNUSED_PAD src0_sel:DWORD src1_sel:WORD_1
	v_add_f32_e32 v30, v30, v42
	v_add_f32_e32 v31, v31, v46
	;; [unrolled: 1-line block ×5, first 2 shown]
	v_fmac_f32_e32 v40, 0x3f5db3d7, v39
	v_fmac_f32_e32 v94, 0xbf5db3d7, v39
	ds_write_b32 v97, v89 offset:72
	ds_write2_b32 v98, v30, v32 offset1:9
	ds_write_b32 v98, v90 offset:72
	ds_write2_b32 v107, v31, v34 offset1:9
	ds_write_b32 v107, v91 offset:72
	ds_write2_b32 v108, v33, v36 offset1:9
	ds_write_b32 v108, v92 offset:72
	ds_write2_b32 v109, v35, v38 offset1:9
	ds_write_b32 v109, v93 offset:72
	ds_write2_b32 v110, v37, v40 offset1:9
	ds_write_b32 v110, v94 offset:72
	v_mov_b32_e32 v34, 19
	v_lshrrev_b16_e32 v79, 1, v79
	v_mul_lo_u16_sdwa v30, v69, v34 dst_sel:DWORD dst_unused:UNUSED_PAD src0_sel:BYTE_0 src1_sel:DWORD
	v_add_u16_sdwa v54, v79, v54 dst_sel:DWORD dst_unused:UNUSED_PAD src0_sel:DWORD src1_sel:WORD_1
	v_lshrrev_b16_e32 v32, 9, v30
	v_lshrrev_b16_e32 v54, 4, v54
	v_mul_lo_u16_e32 v30, 27, v32
	v_mul_lo_u16_e32 v79, 27, v54
	v_sub_u16_e32 v33, v69, v30
	v_mul_u32_u24_sdwa v83, v61, s0 dst_sel:DWORD dst_unused:UNUSED_PAD src0_sel:WORD_0 src1_sel:DWORD
	v_sub_u16_e32 v111, v60, v79
	v_lshlrev_b32_sdwa v30, v16, v33 dst_sel:DWORD dst_unused:UNUSED_PAD src0_sel:DWORD src1_sel:BYTE_0
	v_lshlrev_b32_e32 v79, 4, v111
	v_sub_u16_sdwa v84, v61, v83 dst_sel:DWORD dst_unused:UNUSED_PAD src0_sel:DWORD src1_sel:WORD_1
	s_waitcnt lgkmcnt(0)
	; wave barrier
	s_waitcnt lgkmcnt(0)
	global_load_dwordx4 v[38:41], v30, s[8:9] offset:192
	v_lshrrev_b16_e32 v84, 1, v84
	global_load_dwordx4 v[79:82], v79, s[8:9] offset:192
	v_mul_lo_u16_sdwa v30, v71, v34 dst_sel:DWORD dst_unused:UNUSED_PAD src0_sel:BYTE_0 src1_sel:DWORD
	v_lshrrev_b16_e32 v30, 9, v30
	v_add_u16_sdwa v83, v84, v83 dst_sel:DWORD dst_unused:UNUSED_PAD src0_sel:DWORD src1_sel:WORD_1
	v_mul_lo_u16_e32 v31, 27, v30
	v_lshrrev_b16_e32 v112, 4, v83
	v_sub_u16_e32 v31, v71, v31
	v_mul_lo_u16_e32 v83, 27, v112
	v_lshlrev_b32_sdwa v35, v16, v31 dst_sel:DWORD dst_unused:UNUSED_PAD src0_sel:DWORD src1_sel:BYTE_0
	v_sub_u16_e32 v113, v61, v83
	global_load_dwordx4 v[42:45], v35, s[8:9] offset:192
	v_lshlrev_b32_e32 v83, 4, v113
	global_load_dwordx4 v[83:86], v83, s[8:9] offset:192
	v_mul_lo_u16_sdwa v35, v72, v34 dst_sel:DWORD dst_unused:UNUSED_PAD src0_sel:BYTE_0 src1_sel:DWORD
	v_mul_u32_u24_sdwa v87, v62, s0 dst_sel:DWORD dst_unused:UNUSED_PAD src0_sel:WORD_0 src1_sel:DWORD
	v_lshrrev_b16_e32 v36, 9, v35
	v_sub_u16_sdwa v88, v62, v87 dst_sel:DWORD dst_unused:UNUSED_PAD src0_sel:DWORD src1_sel:WORD_1
	v_mul_lo_u16_e32 v35, 27, v36
	v_lshrrev_b16_e32 v88, 1, v88
	v_sub_u16_e32 v37, v72, v35
	v_add_u16_sdwa v87, v88, v87 dst_sel:DWORD dst_unused:UNUSED_PAD src0_sel:DWORD src1_sel:WORD_1
	v_lshlrev_b32_sdwa v35, v16, v37 dst_sel:DWORD dst_unused:UNUSED_PAD src0_sel:DWORD src1_sel:BYTE_0
	v_lshrrev_b16_e32 v114, 4, v87
	global_load_dwordx4 v[46:49], v35, s[8:9] offset:192
	v_mul_lo_u16_e32 v87, 27, v114
	v_mul_lo_u16_sdwa v34, v70, v34 dst_sel:DWORD dst_unused:UNUSED_PAD src0_sel:BYTE_0 src1_sel:DWORD
	v_sub_u16_e32 v115, v62, v87
	v_lshrrev_b16_e32 v34, 9, v34
	v_lshlrev_b32_e32 v87, 4, v115
	global_load_dwordx4 v[87:90], v87, s[8:9] offset:192
	v_mul_lo_u16_e32 v35, 27, v34
	v_sub_u16_e32 v35, v70, v35
	v_lshlrev_b32_sdwa v50, v16, v35 dst_sel:DWORD dst_unused:UNUSED_PAD src0_sel:DWORD src1_sel:BYTE_0
	global_load_dwordx4 v[50:53], v50, s[8:9] offset:192
	v_mul_u32_u24_sdwa v91, v63, s0 dst_sel:DWORD dst_unused:UNUSED_PAD src0_sel:WORD_0 src1_sel:DWORD
	v_sub_u16_sdwa v92, v63, v91 dst_sel:DWORD dst_unused:UNUSED_PAD src0_sel:DWORD src1_sel:WORD_1
	v_mul_u32_u24_sdwa v95, v64, s0 dst_sel:DWORD dst_unused:UNUSED_PAD src0_sel:WORD_0 src1_sel:DWORD
	v_lshrrev_b16_e32 v92, 1, v92
	v_sub_u16_sdwa v96, v64, v95 dst_sel:DWORD dst_unused:UNUSED_PAD src0_sel:DWORD src1_sel:WORD_1
	v_add_u16_sdwa v91, v92, v91 dst_sel:DWORD dst_unused:UNUSED_PAD src0_sel:DWORD src1_sel:WORD_1
	v_lshrrev_b16_e32 v96, 1, v96
	v_lshrrev_b16_e32 v116, 4, v91
	v_add_u16_sdwa v95, v96, v95 dst_sel:DWORD dst_unused:UNUSED_PAD src0_sel:DWORD src1_sel:WORD_1
	v_mul_lo_u16_e32 v91, 27, v116
	v_lshrrev_b16_e32 v118, 4, v95
	v_sub_u16_e32 v117, v63, v91
	v_mul_lo_u16_e32 v95, 27, v118
	v_lshlrev_b32_e32 v91, 4, v117
	global_load_dwordx4 v[91:94], v91, s[8:9] offset:192
	v_sub_u16_e32 v119, v64, v95
	v_lshlrev_b32_e32 v95, 4, v119
	global_load_dwordx4 v[95:98], v95, s[8:9] offset:192
	ds_read2_b32 v[107:108], v55 offset0:55 offset1:118
	ds_read2_b32 v[109:110], v57 offset0:47 offset1:110
	s_waitcnt vmcnt(8) lgkmcnt(1)
	v_mul_f32_e32 v120, v107, v39
	v_mul_f32_e32 v39, v99, v39
	v_fmac_f32_e32 v120, v99, v38
	v_fma_f32 v99, v107, v38, -v39
	ds_read2_b32 v[38:39], v57 offset0:173 offset1:236
	s_waitcnt lgkmcnt(1)
	v_mul_f32_e32 v107, v110, v41
	v_fmac_f32_e32 v107, v6, v40
	v_mul_f32_e32 v6, v6, v41
	v_fma_f32 v6, v110, v40, -v6
	s_waitcnt vmcnt(6)
	v_mul_f32_e32 v110, v108, v43
	v_mul_f32_e32 v40, v100, v43
	v_fmac_f32_e32 v110, v100, v42
	v_fma_f32 v42, v108, v42, -v40
	s_waitcnt lgkmcnt(0)
	v_mul_f32_e32 v43, v38, v45
	v_mul_f32_e32 v40, v101, v45
	v_fmac_f32_e32 v43, v101, v44
	v_fma_f32 v44, v38, v44, -v40
	ds_read2_b32 v[40:41], v55 offset0:181 offset1:244
	s_waitcnt vmcnt(4)
	v_mul_f32_e32 v45, v39, v49
	v_mul_f32_e32 v38, v102, v49
	v_fmac_f32_e32 v45, v102, v48
	v_fma_f32 v48, v39, v48, -v38
	s_waitcnt lgkmcnt(0)
	v_mul_f32_e32 v49, v40, v47
	v_mul_f32_e32 v38, v103, v47
	v_fmac_f32_e32 v49, v103, v46
	v_fma_f32 v46, v40, v46, -v38
	ds_read2_b32 v[38:39], v58 offset0:43 offset1:106
	;; [unrolled: 11-line block ×3, first 2 shown]
	v_mul_f32_e32 v100, v39, v82
	v_mul_f32_e32 v38, v106, v82
	v_fmac_f32_e32 v100, v106, v81
	v_fma_f32 v81, v39, v81, -v38
	ds_read2_b32 v[38:39], v58 offset0:169 offset1:232
	s_waitcnt lgkmcnt(1)
	v_mul_f32_e32 v82, v40, v80
	v_fmac_f32_e32 v82, v13, v79
	v_mul_f32_e32 v13, v13, v80
	v_fma_f32 v40, v40, v79, -v13
	v_mul_f32_e32 v79, v41, v84
	v_mul_f32_e32 v13, v14, v84
	s_waitcnt lgkmcnt(0)
	v_mul_f32_e32 v80, v38, v86
	v_fmac_f32_e32 v79, v14, v83
	v_fma_f32 v41, v41, v83, -v13
	v_fmac_f32_e32 v80, v11, v85
	v_mul_f32_e32 v11, v11, v86
	ds_read2_b32 v[13:14], v65 offset0:177 offset1:240
	v_fma_f32 v85, v38, v85, -v11
	v_mul_f32_e32 v86, v39, v90
	v_mul_f32_e32 v11, v12, v90
	v_fmac_f32_e32 v86, v12, v89
	v_fma_f32 v89, v39, v89, -v11
	ds_read2_b32 v[11:12], v78 offset0:39 offset1:102
	s_waitcnt lgkmcnt(1)
	v_mul_f32_e32 v90, v13, v88
	v_fmac_f32_e32 v90, v9, v87
	v_mul_f32_e32 v9, v9, v88
	v_fma_f32 v101, v13, v87, -v9
	s_waitcnt vmcnt(1)
	v_mul_f32_e32 v102, v14, v92
	v_mul_f32_e32 v9, v10, v92
	s_waitcnt lgkmcnt(0)
	v_mul_f32_e32 v92, v11, v94
	v_fmac_f32_e32 v92, v7, v93
	v_mul_f32_e32 v7, v7, v94
	s_waitcnt vmcnt(0)
	v_mul_f32_e32 v94, v109, v96
	v_fmac_f32_e32 v94, v5, v95
	v_mul_f32_e32 v5, v5, v96
	v_fma_f32 v93, v11, v93, -v7
	v_fma_f32 v95, v109, v95, -v5
	v_mul_f32_e32 v96, v12, v98
	v_mul_f32_e32 v5, v8, v98
	v_add_f32_e32 v7, v120, v107
	v_fmac_f32_e32 v96, v8, v97
	v_fma_f32 v97, v12, v97, -v5
	v_add_f32_e32 v5, v29, v120
	v_fmac_f32_e32 v29, -0.5, v7
	v_mul_u32_u24_e32 v7, 0x144, v32
	v_lshlrev_b32_sdwa v8, v18, v33 dst_sel:DWORD dst_unused:UNUSED_PAD src0_sel:DWORD src1_sel:BYTE_0
	v_add3_u32 v32, 0, v7, v8
	v_sub_f32_e32 v7, v99, v6
	v_mov_b32_e32 v8, v29
	v_add_f32_e32 v5, v5, v107
	v_fmac_f32_e32 v8, 0xbf5db3d7, v7
	v_fmac_f32_e32 v29, 0x3f5db3d7, v7
	v_add_f32_e32 v7, v110, v43
	ds_read_b32 v33, v17
	ds_read_b32 v98, v19
	;; [unrolled: 1-line block ×9, first 2 shown]
	s_waitcnt lgkmcnt(0)
	; wave barrier
	s_waitcnt lgkmcnt(0)
	ds_write2_b32 v32, v5, v8 offset1:27
	v_add_f32_e32 v5, v28, v110
	v_fmac_f32_e32 v28, -0.5, v7
	v_mul_u32_u24_e32 v7, 0x144, v30
	v_lshlrev_b32_sdwa v8, v18, v31 dst_sel:DWORD dst_unused:UNUSED_PAD src0_sel:DWORD src1_sel:BYTE_0
	ds_write_b32 v32, v29 offset:216
	v_add3_u32 v29, 0, v7, v8
	v_sub_f32_e32 v7, v42, v44
	v_mov_b32_e32 v8, v28
	v_add_f32_e32 v5, v5, v43
	v_fmac_f32_e32 v8, 0xbf5db3d7, v7
	v_fmac_f32_e32 v28, 0x3f5db3d7, v7
	v_add_f32_e32 v7, v49, v45
	ds_write2_b32 v29, v5, v8 offset1:27
	v_add_f32_e32 v5, v27, v49
	v_fmac_f32_e32 v27, -0.5, v7
	v_mul_u32_u24_e32 v7, 0x144, v36
	v_lshlrev_b32_sdwa v8, v18, v37 dst_sel:DWORD dst_unused:UNUSED_PAD src0_sel:DWORD src1_sel:BYTE_0
	ds_write_b32 v29, v28 offset:216
	v_add3_u32 v28, 0, v7, v8
	v_sub_f32_e32 v7, v46, v48
	v_mov_b32_e32 v8, v27
	v_add_f32_e32 v5, v5, v45
	v_fmac_f32_e32 v8, 0xbf5db3d7, v7
	v_fmac_f32_e32 v27, 0x3f5db3d7, v7
	v_add_f32_e32 v7, v47, v51
	;; [unrolled: 13-line block ×3, first 2 shown]
	ds_write2_b32 v27, v5, v8 offset1:27
	v_add_f32_e32 v5, v25, v82
	v_fmac_f32_e32 v25, -0.5, v7
	v_mul_u32_u24_e32 v7, 0x144, v54
	v_lshlrev_b32_e32 v8, 2, v111
	ds_write_b32 v27, v26 offset:216
	v_add3_u32 v26, 0, v7, v8
	v_sub_f32_e32 v7, v40, v81
	v_mov_b32_e32 v8, v25
	v_add_f32_e32 v5, v5, v100
	v_fmac_f32_e32 v8, 0xbf5db3d7, v7
	v_fmac_f32_e32 v25, 0x3f5db3d7, v7
	v_add_f32_e32 v7, v79, v80
	ds_write2_b32 v26, v5, v8 offset1:27
	v_add_f32_e32 v5, v24, v79
	v_fmac_f32_e32 v24, -0.5, v7
	v_mul_u32_u24_e32 v7, 0x144, v112
	v_lshlrev_b32_e32 v8, 2, v113
	ds_write_b32 v26, v25 offset:216
	v_add3_u32 v25, 0, v7, v8
	v_sub_f32_e32 v7, v41, v85
	v_mov_b32_e32 v8, v24
	v_add_f32_e32 v5, v5, v80
	v_fmac_f32_e32 v8, 0xbf5db3d7, v7
	v_fmac_f32_e32 v24, 0x3f5db3d7, v7
	v_add_f32_e32 v7, v90, v86
	ds_write2_b32 v25, v5, v8 offset1:27
	v_add_f32_e32 v5, v23, v90
	v_fmac_f32_e32 v23, -0.5, v7
	v_mul_u32_u24_e32 v7, 0x144, v114
	v_lshlrev_b32_e32 v8, 2, v115
	v_fmac_f32_e32 v102, v10, v91
	ds_write_b32 v25, v24 offset:216
	v_add3_u32 v24, 0, v7, v8
	v_sub_f32_e32 v7, v101, v89
	v_mov_b32_e32 v8, v23
	v_add_f32_e32 v5, v5, v86
	v_fmac_f32_e32 v8, 0xbf5db3d7, v7
	v_fmac_f32_e32 v23, 0x3f5db3d7, v7
	v_add_f32_e32 v7, v102, v92
	v_fma_f32 v91, v14, v91, -v9
	ds_write2_b32 v24, v5, v8 offset1:27
	v_add_f32_e32 v5, v22, v102
	v_fmac_f32_e32 v22, -0.5, v7
	v_mul_u32_u24_e32 v7, 0x144, v116
	v_lshlrev_b32_e32 v8, 2, v117
	v_add3_u32 v30, 0, v7, v8
	v_sub_f32_e32 v7, v91, v93
	v_mov_b32_e32 v8, v22
	v_add_f32_e32 v5, v5, v92
	v_fmac_f32_e32 v8, 0xbf5db3d7, v7
	v_fmac_f32_e32 v22, 0x3f5db3d7, v7
	v_add_f32_e32 v7, v94, v96
	ds_write_b32 v24, v23 offset:216
	ds_write2_b32 v30, v5, v8 offset1:27
	v_add_f32_e32 v5, v20, v94
	v_fmac_f32_e32 v20, -0.5, v7
	v_mul_u32_u24_e32 v7, 0x144, v118
	v_lshlrev_b32_e32 v8, 2, v119
	v_add3_u32 v31, 0, v7, v8
	v_sub_f32_e32 v7, v95, v97
	v_mov_b32_e32 v8, v20
	v_add_f32_e32 v5, v5, v96
	v_fmac_f32_e32 v8, 0xbf5db3d7, v7
	ds_write_b32 v30, v22 offset:216
	ds_write2_b32 v31, v5, v8 offset1:27
	v_add_f32_e32 v5, v33, v99
	v_add_f32_e32 v34, v5, v6
	;; [unrolled: 1-line block ×3, first 2 shown]
	v_fmac_f32_e32 v33, -0.5, v5
	v_sub_f32_e32 v35, v120, v107
	v_fmac_f32_e32 v20, 0x3f5db3d7, v7
	v_mov_b32_e32 v99, v33
	v_fmac_f32_e32 v33, 0xbf5db3d7, v35
	ds_write_b32 v31, v20 offset:216
	v_fmac_f32_e32 v99, 0x3f5db3d7, v35
	s_waitcnt lgkmcnt(0)
	; wave barrier
	s_waitcnt lgkmcnt(0)
	ds_read2_b32 v[36:37], v55 offset0:55 offset1:118
	ds_read2_b32 v[8:9], v57 offset0:47 offset1:110
	;; [unrolled: 1-line block ×8, first 2 shown]
	ds_read_b32 v23, v17
	ds_read_b32 v22, v19
	;; [unrolled: 1-line block ×8, first 2 shown]
	ds_read2_b32 v[10:11], v78 offset0:39 offset1:102
	ds_read_b32 v7, v76
	s_waitcnt lgkmcnt(0)
	; wave barrier
	s_waitcnt lgkmcnt(0)
	ds_write_b32 v32, v33 offset:216
	v_add_f32_e32 v33, v42, v44
	ds_write2_b32 v32, v34, v99 offset1:27
	v_add_f32_e32 v32, v98, v42
	v_fmac_f32_e32 v98, -0.5, v33
	v_sub_f32_e32 v33, v110, v43
	v_mov_b32_e32 v34, v98
	v_add_f32_e32 v32, v32, v44
	v_fmac_f32_e32 v34, 0x3f5db3d7, v33
	ds_write2_b32 v29, v32, v34 offset1:27
	v_fmac_f32_e32 v98, 0xbf5db3d7, v33
	v_add_f32_e32 v32, v46, v48
	ds_write_b32 v29, v98 offset:216
	v_add_f32_e32 v29, v103, v46
	v_fmac_f32_e32 v103, -0.5, v32
	v_sub_f32_e32 v32, v49, v45
	v_mov_b32_e32 v33, v103
	v_add_f32_e32 v29, v29, v48
	v_fmac_f32_e32 v33, 0x3f5db3d7, v32
	ds_write2_b32 v28, v29, v33 offset1:27
	v_fmac_f32_e32 v103, 0xbf5db3d7, v32
	v_add_f32_e32 v29, v50, v52
	ds_write_b32 v28, v103 offset:216
	;; [unrolled: 10-line block ×3, first 2 shown]
	v_add_f32_e32 v27, v105, v40
	v_fmac_f32_e32 v105, -0.5, v28
	v_sub_f32_e32 v28, v82, v100
	v_mov_b32_e32 v29, v105
	v_add_f32_e32 v32, v41, v85
	v_fmac_f32_e32 v29, 0x3f5db3d7, v28
	v_fmac_f32_e32 v105, 0xbf5db3d7, v28
	v_add_f32_e32 v28, v106, v41
	v_fmac_f32_e32 v106, -0.5, v32
	v_sub_f32_e32 v32, v79, v80
	v_mov_b32_e32 v33, v106
	v_add_f32_e32 v34, v101, v89
	v_fmac_f32_e32 v33, 0x3f5db3d7, v32
	v_fmac_f32_e32 v106, 0xbf5db3d7, v32
	v_add_f32_e32 v32, v108, v101
	v_fmac_f32_e32 v108, -0.5, v34
	v_sub_f32_e32 v34, v90, v86
	v_mov_b32_e32 v35, v108
	v_add_f32_e32 v40, v91, v93
	v_fmac_f32_e32 v35, 0x3f5db3d7, v34
	v_fmac_f32_e32 v108, 0xbf5db3d7, v34
	v_add_f32_e32 v34, v109, v91
	v_fmac_f32_e32 v109, -0.5, v40
	v_sub_f32_e32 v40, v102, v92
	v_mov_b32_e32 v41, v109
	v_add_f32_e32 v42, v95, v97
	v_fmac_f32_e32 v41, 0x3f5db3d7, v40
	v_fmac_f32_e32 v109, 0xbf5db3d7, v40
	v_add_f32_e32 v40, v121, v95
	v_fmac_f32_e32 v121, -0.5, v42
	v_add_f32_e32 v27, v27, v81
	v_add_f32_e32 v28, v28, v85
	v_sub_f32_e32 v42, v94, v96
	v_mov_b32_e32 v43, v121
	v_add_f32_e32 v32, v32, v89
	v_add_f32_e32 v34, v34, v93
	;; [unrolled: 1-line block ×3, first 2 shown]
	v_fmac_f32_e32 v43, 0x3f5db3d7, v42
	v_fmac_f32_e32 v121, 0xbf5db3d7, v42
	ds_write2_b32 v26, v27, v29 offset1:27
	ds_write_b32 v26, v105 offset:216
	ds_write2_b32 v25, v28, v33 offset1:27
	ds_write_b32 v25, v106 offset:216
	ds_write2_b32 v24, v32, v35 offset1:27
	ds_write_b32 v24, v108 offset:216
	ds_write2_b32 v30, v34, v41 offset1:27
	ds_write_b32 v30, v109 offset:216
	ds_write2_b32 v31, v40, v43 offset1:27
	ds_write_b32 v31, v121 offset:216
	v_lshlrev_b32_e32 v28, 1, v69
	v_mov_b32_e32 v29, 0
	v_lshlrev_b64 v[24:25], 3, v[28:29]
	v_mov_b32_e32 v30, s9
	v_add_co_u32_e64 v24, s[0:1], s8, v24
	v_addc_co_u32_e64 v25, s[0:1], v30, v25, s[0:1]
	v_subrev_u32_e32 v28, 18, v69
	v_cmp_gt_u32_e64 s[0:1], 18, v69
	v_cndmask_b32_e64 v115, v28, v71, s[0:1]
	v_lshlrev_b32_e32 v28, 1, v115
	v_lshlrev_b64 v[28:29], 3, v[28:29]
	s_waitcnt lgkmcnt(0)
	v_add_co_u32_e64 v28, s[0:1], s8, v28
	v_addc_co_u32_e64 v29, s[0:1], v30, v29, s[0:1]
	s_movk_i32 s0, 0xcb
	v_mul_lo_u16_sdwa v32, v72, s0 dst_sel:DWORD dst_unused:UNUSED_PAD src0_sel:BYTE_0 src1_sel:DWORD
	v_mul_lo_u16_sdwa v40, v70, s0 dst_sel:DWORD dst_unused:UNUSED_PAD src0_sel:BYTE_0 src1_sel:DWORD
	v_lshrrev_b16_e32 v116, 14, v32
	v_lshrrev_b16_e32 v118, 14, v40
	v_mul_lo_u16_e32 v32, 0x51, v116
	v_mul_lo_u16_e32 v40, 0x51, v118
	v_sub_u16_e32 v117, v72, v32
	v_sub_u16_e32 v119, v70, v40
	v_lshlrev_b32_sdwa v32, v16, v117 dst_sel:DWORD dst_unused:UNUSED_PAD src0_sel:DWORD src1_sel:BYTE_0
	v_lshlrev_b32_sdwa v16, v16, v119 dst_sel:DWORD dst_unused:UNUSED_PAD src0_sel:DWORD src1_sel:BYTE_0
	s_movk_i32 s0, 0x6523
	; wave barrier
	global_load_dwordx4 v[32:35], v32, s[8:9] offset:624
	s_nop 0
	global_load_dwordx4 v[41:44], v16, s[8:9] offset:624
	v_mul_u32_u24_sdwa v16, v60, s0 dst_sel:DWORD dst_unused:UNUSED_PAD src0_sel:WORD_0 src1_sel:DWORD
	v_lshrrev_b32_e32 v16, 21, v16
	v_mul_lo_u16_e32 v16, 0x51, v16
	v_sub_u16_e32 v120, v60, v16
	v_lshlrev_b32_e32 v16, 4, v120
	global_load_dwordx4 v[24:27], v[24:25], off offset:624
	s_nop 0
	global_load_dwordx4 v[47:50], v16, s[8:9] offset:624
	v_mul_u32_u24_sdwa v16, v61, s0 dst_sel:DWORD dst_unused:UNUSED_PAD src0_sel:WORD_0 src1_sel:DWORD
	v_lshrrev_b32_e32 v121, 21, v16
	global_load_dwordx4 v[28:31], v[28:29], off offset:624
	v_mul_lo_u16_e32 v16, 0x51, v121
	v_sub_u16_e32 v122, v61, v16
	v_lshlrev_b32_e32 v16, 4, v122
	global_load_dwordx4 v[95:98], v16, s[8:9] offset:624
	v_mul_u32_u24_sdwa v16, v62, s0 dst_sel:DWORD dst_unused:UNUSED_PAD src0_sel:WORD_0 src1_sel:DWORD
	v_lshrrev_b32_e32 v123, 21, v16
	v_mul_lo_u16_e32 v16, 0x51, v123
	v_sub_u16_e32 v124, v62, v16
	v_lshlrev_b32_e32 v16, 4, v124
	global_load_dwordx4 v[99:102], v16, s[8:9] offset:624
	v_mul_u32_u24_sdwa v16, v63, s0 dst_sel:DWORD dst_unused:UNUSED_PAD src0_sel:WORD_0 src1_sel:DWORD
	v_lshrrev_b32_e32 v125, 21, v16
	;; [unrolled: 6-line block ×3, first 2 shown]
	v_mul_lo_u16_e32 v16, 0x51, v16
	v_sub_u16_e32 v127, v64, v16
	v_lshlrev_b32_e32 v16, 4, v127
	global_load_dwordx4 v[107:110], v16, s[8:9] offset:624
	ds_read2_b32 v[60:61], v55 offset0:55 offset1:118
	ds_read2_b32 v[45:46], v57 offset0:47 offset1:110
	;; [unrolled: 1-line block ×3, first 2 shown]
	v_cmp_lt_u32_e64 s[0:1], 17, v69
	s_waitcnt vmcnt(8) lgkmcnt(0)
	v_mul_f32_e32 v40, v63, v35
	v_fmac_f32_e32 v40, v39, v34
	s_waitcnt vmcnt(6)
	v_mul_f32_e32 v52, v60, v25
	v_mul_f32_e32 v16, v36, v25
	;; [unrolled: 1-line block ×3, first 2 shown]
	v_fmac_f32_e32 v52, v36, v24
	v_fma_f32 v90, v60, v24, -v16
	v_fmac_f32_e32 v85, v9, v26
	v_mul_f32_e32 v9, v9, v27
	ds_read2_b32 v[24:25], v55 offset0:181 offset1:244
	v_fma_f32 v94, v46, v26, -v9
	s_waitcnt vmcnt(4)
	v_mul_f32_e32 v9, v37, v29
	v_fma_f32 v86, v61, v28, -v9
	v_mul_f32_e32 v9, v38, v31
	ds_read2_b32 v[26:27], v58 offset0:43 offset1:106
	v_fma_f32 v93, v62, v30, -v9
	v_mul_f32_e32 v9, v39, v35
	v_fma_f32 v82, v63, v34, -v9
	v_mul_f32_e32 v9, v53, v33
	v_mul_f32_e32 v46, v61, v29
	s_waitcnt lgkmcnt(1)
	v_fma_f32 v92, v24, v32, -v9
	v_mul_f32_e32 v9, v54, v42
	v_fmac_f32_e32 v46, v37, v28
	v_mul_f32_e32 v63, v24, v33
	v_mul_f32_e32 v37, v25, v42
	v_fma_f32 v80, v25, v41, -v9
	v_mul_f32_e32 v9, v83, v44
	ds_read2_b32 v[24:25], v65 offset0:51 offset1:114
	s_waitcnt lgkmcnt(1)
	v_fma_f32 v91, v26, v43, -v9
	v_mul_f32_e32 v9, v84, v50
	v_fmac_f32_e32 v63, v53, v32
	v_mul_f32_e32 v53, v26, v44
	v_mul_f32_e32 v35, v27, v50
	v_fma_f32 v64, v27, v49, -v9
	ds_read2_b32 v[26:27], v58 offset0:169 offset1:232
	v_mul_f32_e32 v9, v87, v48
	s_waitcnt lgkmcnt(1)
	v_fma_f32 v89, v24, v47, -v9
	s_waitcnt vmcnt(3)
	v_mul_f32_e32 v9, v88, v96
	v_fmac_f32_e32 v37, v54, v41
	v_mul_f32_e32 v50, v24, v48
	v_fma_f32 v54, v25, v95, -v9
	v_mul_f32_e32 v9, v111, v98
	v_fmac_f32_e32 v50, v87, v47
	s_waitcnt lgkmcnt(0)
	v_fma_f32 v87, v26, v97, -v9
	s_waitcnt vmcnt(2)
	v_mul_f32_e32 v9, v112, v102
	v_mul_f32_e32 v79, v62, v31
	;; [unrolled: 1-line block ×4, first 2 shown]
	ds_read2_b32 v[24:25], v65 offset0:177 offset1:240
	v_mul_f32_e32 v31, v27, v102
	v_fma_f32 v51, v27, v101, -v9
	ds_read2_b32 v[26:27], v78 offset0:39 offset1:102
	s_waitcnt vmcnt(1)
	v_mul_f32_e32 v16, v114, v104
	v_fmac_f32_e32 v79, v38, v30
	s_waitcnt lgkmcnt(1)
	v_fma_f32 v48, v25, v103, -v16
	s_waitcnt vmcnt(0)
	v_mul_f32_e32 v16, v45, v108
	s_waitcnt lgkmcnt(0)
	v_mul_f32_e32 v38, v26, v106
	v_fmac_f32_e32 v38, v10, v105
	v_mul_f32_e32 v10, v10, v106
	v_fmac_f32_e32 v16, v8, v107
	v_mul_f32_e32 v8, v8, v108
	v_mul_f32_e32 v9, v113, v100
	v_fma_f32 v78, v26, v105, -v10
	v_fma_f32 v42, v45, v107, -v8
	v_mul_f32_e32 v8, v11, v110
	v_add_f32_e32 v10, v52, v85
	v_fmac_f32_e32 v53, v83, v43
	v_mul_f32_e32 v41, v24, v100
	v_fma_f32 v83, v24, v99, -v9
	v_fma_f32 v81, v27, v109, -v8
	v_add_f32_e32 v8, v23, v52
	v_fmac_f32_e32 v23, -0.5, v10
	v_sub_f32_e32 v24, v90, v94
	v_mul_f32_e32 v9, v25, v104
	v_mul_f32_e32 v36, v27, v110
	v_mov_b32_e32 v25, v23
	v_fmac_f32_e32 v23, 0x3f5db3d7, v24
	v_fmac_f32_e32 v35, v84, v49
	;; [unrolled: 1-line block ×4, first 2 shown]
	v_add_f32_e32 v8, v8, v85
	v_fmac_f32_e32 v25, 0xbf5db3d7, v24
	ds_read_b32 v88, v17
	ds_read_b32 v84, v19
	;; [unrolled: 1-line block ×9, first 2 shown]
	s_waitcnt lgkmcnt(0)
	; wave barrier
	s_waitcnt lgkmcnt(0)
	v_add_f32_e32 v24, v46, v79
	ds_write_b32 v17, v23 offset:648
	v_mov_b32_e32 v23, 0x3cc
	ds_write2_b32 v17, v8, v25 offset1:81
	v_add_f32_e32 v8, v22, v46
	v_fmac_f32_e32 v22, -0.5, v24
	v_cndmask_b32_e64 v23, 0, v23, s[0:1]
	v_lshlrev_b32_e32 v24, 2, v115
	v_add3_u32 v95, 0, v23, v24
	v_sub_f32_e32 v23, v86, v93
	v_mov_b32_e32 v24, v22
	v_add_f32_e32 v8, v8, v79
	v_fmac_f32_e32 v24, 0xbf5db3d7, v23
	v_fmac_f32_e32 v22, 0x3f5db3d7, v23
	v_add_f32_e32 v23, v63, v40
	ds_write2_b32 v95, v8, v24 offset1:81
	v_add_f32_e32 v8, v20, v63
	v_fmac_f32_e32 v20, -0.5, v23
	ds_write_b32 v95, v22 offset:648
	v_mul_u32_u24_e32 v22, 0x3cc, v116
	v_lshlrev_b32_sdwa v23, v18, v117 dst_sel:DWORD dst_unused:UNUSED_PAD src0_sel:DWORD src1_sel:BYTE_0
	v_add3_u32 v96, 0, v22, v23
	v_sub_f32_e32 v22, v92, v82
	v_mov_b32_e32 v23, v20
	v_add_f32_e32 v8, v8, v40
	v_fmac_f32_e32 v23, 0xbf5db3d7, v22
	v_fmac_f32_e32 v20, 0x3f5db3d7, v22
	v_add_f32_e32 v22, v37, v53
	ds_write2_b32 v96, v8, v23 offset1:81
	v_add_f32_e32 v8, v14, v37
	v_fmac_f32_e32 v14, -0.5, v22
	ds_write_b32 v96, v20 offset:648
	v_lshlrev_b32_sdwa v18, v18, v119 dst_sel:DWORD dst_unused:UNUSED_PAD src0_sel:DWORD src1_sel:BYTE_0
	v_mul_u32_u24_e32 v20, 0x3cc, v118
	v_add3_u32 v18, 0, v20, v18
	v_sub_f32_e32 v20, v80, v91
	v_mov_b32_e32 v22, v14
	v_add_f32_e32 v8, v8, v53
	v_fmac_f32_e32 v22, 0xbf5db3d7, v20
	v_fmac_f32_e32 v14, 0x3f5db3d7, v20
	v_add_f32_e32 v20, v50, v35
	ds_write2_b32 v18, v8, v22 offset1:81
	v_add_f32_e32 v8, v13, v50
	v_fmac_f32_e32 v13, -0.5, v20
	v_fmac_f32_e32 v47, v111, v97
	ds_write_b32 v18, v14 offset:648
	v_sub_f32_e32 v14, v89, v64
	v_mov_b32_e32 v20, v13
	v_lshl_add_u32 v97, v120, 2, 0
	v_add_f32_e32 v8, v8, v35
	v_fmac_f32_e32 v20, 0xbf5db3d7, v14
	v_add_u32_e32 v98, 0xa00, v97
	v_fmac_f32_e32 v13, 0x3f5db3d7, v14
	v_add_f32_e32 v14, v32, v47
	ds_write2_b32 v98, v8, v20 offset0:89 offset1:170
	v_add_f32_e32 v8, v5, v32
	v_fmac_f32_e32 v5, -0.5, v14
	ds_write_b32 v97, v13 offset:3564
	v_mul_u32_u24_e32 v13, 0x3cc, v121
	v_lshlrev_b32_e32 v14, 2, v122
	v_fmac_f32_e32 v31, v112, v101
	v_fmac_f32_e32 v41, v113, v99
	v_add3_u32 v99, 0, v13, v14
	v_sub_f32_e32 v13, v54, v87
	v_mov_b32_e32 v14, v5
	v_add_f32_e32 v8, v8, v47
	v_fmac_f32_e32 v14, 0xbf5db3d7, v13
	v_fmac_f32_e32 v5, 0x3f5db3d7, v13
	v_add_f32_e32 v13, v41, v31
	ds_write2_b32 v99, v8, v14 offset1:81
	v_add_f32_e32 v8, v12, v41
	v_fmac_f32_e32 v12, -0.5, v13
	ds_write_b32 v99, v5 offset:648
	v_mul_u32_u24_e32 v5, 0x3cc, v123
	v_lshlrev_b32_e32 v13, 2, v124
	v_add3_u32 v100, 0, v5, v13
	v_add_f32_e32 v5, v8, v31
	v_sub_f32_e32 v8, v83, v51
	v_mov_b32_e32 v13, v12
	v_fmac_f32_e32 v9, v114, v103
	v_fmac_f32_e32 v13, 0xbf5db3d7, v8
	ds_write2_b32 v100, v5, v13 offset1:81
	v_add_f32_e32 v5, v9, v38
	v_fmac_f32_e32 v12, 0x3f5db3d7, v8
	v_add_f32_e32 v8, v6, v9
	v_fmac_f32_e32 v6, -0.5, v5
	v_mov_b32_e32 v5, v6
	v_sub_f32_e32 v13, v48, v78
	v_add_f32_e32 v14, v16, v36
	v_fmac_f32_e32 v5, 0xbf5db3d7, v13
	v_fmac_f32_e32 v6, 0x3f5db3d7, v13
	v_add_f32_e32 v13, v7, v16
	v_fmac_f32_e32 v7, -0.5, v14
	v_mov_b32_e32 v14, v7
	v_sub_f32_e32 v20, v42, v81
	v_fmac_f32_e32 v14, 0xbf5db3d7, v20
	v_fmac_f32_e32 v7, 0x3f5db3d7, v20
	ds_write_b32 v100, v12 offset:648
	v_mul_u32_u24_e32 v12, 0x3cc, v125
	v_lshlrev_b32_e32 v20, 2, v126
	v_add3_u32 v101, 0, v12, v20
	v_sub_u32_e32 v12, 0, v67
	v_lshl_add_u32 v67, v127, 2, 0
	v_add_f32_e32 v13, v13, v36
	v_add_f32_e32 v73, v8, v38
	v_add_u32_e32 v105, 0x1600, v67
	ds_write2_b32 v101, v73, v5 offset1:81
	ds_write_b32 v101, v6 offset:648
	ds_write2_b32 v105, v13, v14 offset0:50 offset1:131
	ds_write_b32 v67, v7 offset:6480
	s_waitcnt lgkmcnt(0)
	; wave barrier
	s_waitcnt lgkmcnt(0)
	v_add_u32_e32 v107, 0x600, v17
	v_add_u32_e32 v106, 0xe00, v17
	;; [unrolled: 1-line block ×4, first 2 shown]
	ds_read_b32 v22, v59
	ds_read_b32 v75, v19
	ds_read_b32 v76, v17 offset:6336
	ds_read2_b32 v[19:20], v17 offset1:243
	ds_read2_b32 v[23:24], v107 offset0:102 offset1:165
	ds_read2_b32 v[29:30], v55 offset0:100 offset1:217
	;; [unrolled: 1-line block ×8, first 2 shown]
	v_sub_u32_e32 v8, 0, v66
	v_sub_u32_e32 v108, 0, v15
	v_add_u32_e32 v102, v56, v8
	v_cmp_gt_u32_e64 s[0:1], 54, v69
	s_and_saveexec_b64 s[6:7], s[0:1]
	s_cbranch_execz .LBB0_15
; %bb.14:
	v_add_u32_e32 v7, 0xe40, v17
	v_add_u32_e32 v5, 0x6c0, v17
	ds_read2_b32 v[13:14], v7 offset0:6 offset1:249
	v_add_u32_e32 v7, 0x15c0, v17
	ds_read_b32 v73, v102
	ds_read2_b32 v[5:6], v5 offset1:243
	ds_read2_b32 v[7:8], v7 offset0:12 offset1:255
.LBB0_15:
	s_or_b64 exec, exec, s[6:7]
	v_add_f32_e32 v15, v88, v90
	v_add_f32_e32 v56, v15, v94
	v_add_f32_e32 v15, v90, v94
	v_fmac_f32_e32 v88, -0.5, v15
	v_sub_f32_e32 v15, v52, v85
	v_mov_b32_e32 v52, v88
	v_fmac_f32_e32 v52, 0x3f5db3d7, v15
	v_fmac_f32_e32 v88, 0xbf5db3d7, v15
	v_add_f32_e32 v15, v84, v86
	v_add_f32_e32 v66, v15, v93
	v_add_f32_e32 v15, v86, v93
	v_fmac_f32_e32 v84, -0.5, v15
	v_sub_f32_e32 v15, v46, v79
	v_mov_b32_e32 v46, v84
	v_fmac_f32_e32 v46, 0x3f5db3d7, v15
	v_fmac_f32_e32 v84, 0xbf5db3d7, v15
	;; [unrolled: 8-line block ×7, first 2 shown]
	v_add_f32_e32 v15, v10, v48
	v_add_f32_e32 v74, v15, v78
	;; [unrolled: 1-line block ×3, first 2 shown]
	v_fmac_f32_e32 v10, -0.5, v15
	v_sub_f32_e32 v15, v9, v38
	v_mov_b32_e32 v9, v10
	v_add_f32_e32 v38, v42, v81
	v_fmac_f32_e32 v9, 0x3f5db3d7, v15
	v_fmac_f32_e32 v10, 0xbf5db3d7, v15
	v_add_f32_e32 v15, v11, v42
	v_fmac_f32_e32 v11, -0.5, v38
	v_sub_f32_e32 v36, v16, v36
	v_mov_b32_e32 v16, v11
	v_add_f32_e32 v15, v15, v81
	v_fmac_f32_e32 v16, 0x3f5db3d7, v36
	v_fmac_f32_e32 v11, 0xbf5db3d7, v36
	s_waitcnt lgkmcnt(0)
	; wave barrier
	s_waitcnt lgkmcnt(0)
	ds_write2_b32 v17, v56, v52 offset1:81
	ds_write_b32 v17, v88 offset:648
	ds_write2_b32 v95, v66, v46 offset1:81
	ds_write_b32 v95, v84 offset:648
	;; [unrolled: 2-line block ×4, first 2 shown]
	ds_write2_b32 v98, v53, v35 offset0:89 offset1:170
	ds_write_b32 v97, v49 offset:3564
	ds_write2_b32 v99, v50, v32 offset1:81
	ds_write_b32 v99, v45 offset:648
	ds_write2_b32 v100, v47, v31 offset1:81
	;; [unrolled: 2-line block ×3, first 2 shown]
	ds_write_b32 v101, v10 offset:648
	ds_write2_b32 v105, v15, v16 offset0:50 offset1:131
	ds_write_b32 v67, v11 offset:6480
	s_waitcnt lgkmcnt(0)
	; wave barrier
	s_waitcnt lgkmcnt(0)
	ds_read2_b32 v[47:48], v17 offset1:243
	ds_read2_b32 v[49:50], v107 offset0:102 offset1:165
	ds_read2_b32 v[55:56], v55 offset0:100 offset1:217
	;; [unrolled: 1-line block ×5, first 2 shown]
	v_add_u32_e32 v0, v0, v12
	v_add_u32_e32 v12, v21, v108
	ds_read2_b32 v[67:68], v104 offset0:50 offset1:113
	ds_read2_b32 v[65:66], v65 offset0:24 offset1:87
	;; [unrolled: 1-line block ×3, first 2 shown]
	ds_read_b32 v21, v12
	ds_read_b32 v0, v0
	ds_read_b32 v31, v17 offset:6336
	s_and_saveexec_b64 s[6:7], s[0:1]
	s_cbranch_execz .LBB0_17
; %bb.16:
	v_add_u32_e32 v11, 0xe40, v17
	v_add_u32_e32 v9, 0x6c0, v17
	ds_read2_b32 v[15:16], v11 offset0:6 offset1:249
	v_add_u32_e32 v11, 0x15c0, v17
	ds_read_b32 v74, v102
	ds_read2_b32 v[9:10], v9 offset1:243
	ds_read2_b32 v[11:12], v11 offset0:12 offset1:255
.LBB0_17:
	s_or_b64 exec, exec, s[6:7]
	s_and_saveexec_b64 s[6:7], vcc
	s_cbranch_execz .LBB0_20
; %bb.18:
	v_mul_i32_i24_e32 v17, 6, v72
	v_mov_b32_e32 v18, 0
	v_lshlrev_b64 v[35:36], 3, v[17:18]
	v_mov_b32_e32 v32, s9
	v_add_co_u32_e32 v45, vcc, s8, v35
	v_addc_co_u32_e32 v46, vcc, v32, v36, vcc
	global_load_dwordx4 v[35:38], v[45:46], off offset:1920
	global_load_dwordx4 v[39:42], v[45:46], off offset:1952
	global_load_dwordx4 v[77:80], v[45:46], off offset:1936
	v_mul_i32_i24_e32 v17, 6, v71
	v_mul_lo_u32 v72, s5, v3
	v_mul_lo_u32 v81, s4, v4
	v_mad_u64_u32 v[45:46], s[4:5], s4, v3, 0
	v_lshlrev_b64 v[3:4], 3, v[17:18]
	s_mov_b32 s4, 0x3eae86e6
	v_add_co_u32_e32 v3, vcc, s8, v3
	v_addc_co_u32_e32 v4, vcc, v32, v4, vcc
	v_add3_u32 v46, v46, v81, v72
	global_load_dwordx4 v[81:84], v[3:4], off offset:1920
	global_load_dwordx4 v[85:88], v[3:4], off offset:1952
	;; [unrolled: 1-line block ×3, first 2 shown]
	s_mov_b32 s5, 0xbf5ff5aa
	s_mov_b32 s6, 0xbf3bfb3b
	;; [unrolled: 1-line block ×4, first 2 shown]
	s_movk_i32 s10, 0xf3
	v_lshlrev_b64 v[45:46], 3, v[45:46]
	s_waitcnt vmcnt(5) lgkmcnt(5)
	v_mul_f32_e32 v3, v68, v36
	s_waitcnt vmcnt(4) lgkmcnt(0)
	v_mul_f32_e32 v4, v31, v42
	s_waitcnt vmcnt(3)
	v_mul_f32_e32 v17, v51, v80
	v_mul_f32_e32 v32, v66, v78
	;; [unrolled: 1-line block ×10, first 2 shown]
	v_fmac_f32_e32 v3, v62, v35
	v_fmac_f32_e32 v4, v76, v41
	;; [unrolled: 1-line block ×6, first 2 shown]
	v_fma_f32 v25, v31, v41, -v42
	v_fma_f32 v29, v68, v35, -v36
	;; [unrolled: 1-line block ×6, first 2 shown]
	v_sub_f32_e32 v38, v3, v4
	v_sub_f32_e32 v36, v17, v32
	;; [unrolled: 1-line block ×3, first 2 shown]
	v_add_f32_e32 v41, v29, v25
	v_add_f32_e32 v44, v37, v39
	;; [unrolled: 1-line block ×6, first 2 shown]
	v_sub_f32_e32 v25, v29, v25
	v_sub_f32_e32 v29, v35, v31
	;; [unrolled: 1-line block ×4, first 2 shown]
	v_add_f32_e32 v32, v36, v40
	v_add_f32_e32 v36, v41, v44
	v_sub_f32_e32 v62, v3, v17
	v_add_f32_e32 v64, v51, v17
	v_sub_f32_e32 v35, v42, v44
	v_sub_f32_e32 v60, v51, v3
	v_mul_f32_e32 v68, 0x3f08b237, v4
	v_add_f32_e32 v4, v42, v36
	v_mul_f32_e32 v62, 0x3d64c772, v62
	v_add_f32_e32 v3, v3, v64
	;; [unrolled: 2-line block ×3, first 2 shown]
	v_mov_b32_e32 v21, v62
	v_add_f32_e32 v35, v22, v3
	v_sub_f32_e32 v55, v41, v42
	v_mul_f32_e32 v42, 0x3f4a47b2, v60
	v_fmac_f32_e32 v21, 0x3f4a47b2, v60
	v_mov_b32_e32 v60, v35
	v_fmac_f32_e32 v60, 0xbf955555, v3
	v_add_f32_e32 v77, v21, v60
	v_sub_f32_e32 v21, v37, v39
	v_add_f32_e32 v32, v38, v32
	v_sub_f32_e32 v3, v29, v21
	v_sub_f32_e32 v38, v40, v38
	v_mov_b32_e32 v64, v68
	v_mov_b32_e32 v76, v72
	v_mul_f32_e32 v37, 0x3f08b237, v3
	v_add_f32_e32 v3, v29, v21
	v_mul_f32_e32 v22, 0xbf5ff5aa, v38
	v_sub_f32_e32 v66, v25, v29
	v_mul_f32_e32 v71, 0x3f4a47b2, v55
	v_fmac_f32_e32 v64, 0xbeae86e6, v31
	v_fmac_f32_e32 v76, 0x3f4a47b2, v55
	v_mov_b32_e32 v55, v36
	v_add_f32_e32 v29, v25, v3
	v_fma_f32 v39, v31, s4, -v22
	v_sub_f32_e32 v31, v44, v41
	v_sub_f32_e32 v17, v17, v51
	;; [unrolled: 1-line block ×3, first 2 shown]
	v_fmac_f32_e32 v55, 0xbf955555, v4
	v_fma_f32 v22, v31, s6, -v71
	v_fma_f32 v41, v17, s6, -v42
	v_mul_f32_e32 v21, 0xbf5ff5aa, v25
	v_fma_f32 v31, v31, s7, -v72
	v_fma_f32 v38, v38, s5, -v68
	;; [unrolled: 1-line block ×4, first 2 shown]
	v_add_f32_e32 v44, v31, v55
	v_fmac_f32_e32 v38, 0xbee1c552, v32
	v_fmac_f32_e32 v25, 0xbee1c552, v29
	v_add_f32_e32 v17, v17, v60
	v_fmac_f32_e32 v64, 0xbee1c552, v32
	v_add_f32_e32 v76, v76, v55
	v_mov_b32_e32 v78, v37
	v_fmac_f32_e32 v39, 0xbee1c552, v32
	v_add_f32_e32 v40, v22, v55
	v_sub_f32_e32 v32, v44, v38
	v_add_f32_e32 v31, v25, v17
	v_add_f32_e32 v38, v38, v44
	v_sub_f32_e32 v37, v17, v25
	s_waitcnt vmcnt(2)
	v_mul_f32_e32 v17, v67, v82
	s_waitcnt vmcnt(1)
	v_mul_f32_e32 v44, v58, v88
	;; [unrolled: 2-line block ×3, first 2 shown]
	v_mul_f32_e32 v62, v65, v90
	v_mul_f32_e32 v71, v50, v84
	;; [unrolled: 1-line block ×3, first 2 shown]
	v_fmac_f32_e32 v17, v61, v81
	v_fmac_f32_e32 v44, v34, v87
	;; [unrolled: 1-line block ×7, first 2 shown]
	v_fma_f32 v42, v66, s4, -v21
	v_sub_f32_e32 v51, v17, v44
	v_sub_f32_e32 v25, v55, v62
	;; [unrolled: 1-line block ×3, first 2 shown]
	v_fmac_f32_e32 v78, 0xbee1c552, v29
	v_fmac_f32_e32 v42, 0xbee1c552, v29
	v_sub_f32_e32 v68, v51, v25
	v_sub_f32_e32 v29, v25, v80
	v_add_f32_e32 v25, v25, v80
	v_mul_f32_e32 v93, 0x3f08b237, v29
	v_add_f32_e32 v95, v51, v25
	v_mul_f32_e32 v25, v34, v88
	v_mul_u32_u24_e32 v29, 6, v69
	v_fma_f32 v34, v58, v87, -v25
	v_mul_f32_e32 v25, v61, v82
	v_lshlrev_b32_e32 v29, 3, v29
	v_add_f32_e32 v41, v41, v60
	v_fma_f32 v81, v67, v81, -v25
	v_mul_f32_e32 v25, v59, v90
	global_load_dwordx4 v[58:61], v29, s[8:9] offset:1920
	v_add_f32_e32 v4, v64, v76
	v_sub_f32_e32 v3, v77, v78
	v_add_f32_e32 v22, v39, v40
	v_sub_f32_e32 v21, v41, v42
	v_sub_f32_e32 v40, v40, v39
	v_add_f32_e32 v39, v42, v41
	v_sub_f32_e32 v42, v76, v64
	v_add_f32_e32 v41, v78, v77
	global_load_dwordx4 v[76:79], v29, s[8:9] offset:1936
	v_fma_f32 v87, v65, v89, -v25
	global_load_dwordx4 v[64:67], v29, s[8:9] offset:1952
	v_mul_f32_e32 v43, v43, v86
	v_mul_f32_e32 v24, v24, v84
	;; [unrolled: 1-line block ×3, first 2 shown]
	v_fma_f32 v43, v63, v85, -v43
	v_fma_f32 v50, v50, v83, -v24
	v_add_f32_e32 v82, v81, v34
	v_fma_f32 v28, v54, v91, -v25
	v_add_f32_e32 v63, v50, v43
	v_add_f32_e32 v25, v28, v87
	;; [unrolled: 1-line block ×3, first 2 shown]
	v_sub_f32_e32 v24, v25, v63
	v_add_f32_e32 v29, v25, v29
	v_sub_f32_e32 v54, v82, v25
	v_mul_f32_e32 v83, 0x3d64c772, v24
	v_add_f32_e32 v25, v0, v29
	v_mov_b32_e32 v24, v83
	v_mov_b32_e32 v0, v25
	v_fmac_f32_e32 v24, 0x3f4a47b2, v54
	v_fmac_f32_e32 v0, 0xbf955555, v29
	v_add_f32_e32 v84, v24, v0
	v_add_f32_e32 v24, v55, v62
	;; [unrolled: 1-line block ×3, first 2 shown]
	v_sub_f32_e32 v62, v24, v55
	v_add_f32_e32 v17, v17, v44
	v_mul_f32_e32 v62, 0x3d64c772, v62
	v_sub_f32_e32 v44, v17, v24
	v_mov_b32_e32 v71, v62
	v_mul_f32_e32 v88, 0x3f4a47b2, v54
	v_mul_f32_e32 v54, 0x3f4a47b2, v44
	v_fmac_f32_e32 v71, 0x3f4a47b2, v44
	v_add_f32_e32 v44, v17, v55
	v_add_f32_e32 v44, v24, v44
	;; [unrolled: 1-line block ×3, first 2 shown]
	v_mov_b32_e32 v72, v24
	v_sub_f32_e32 v28, v28, v87
	v_sub_f32_e32 v43, v50, v43
	v_fmac_f32_e32 v72, 0xbf955555, v44
	v_sub_f32_e32 v44, v28, v43
	v_sub_f32_e32 v51, v80, v51
	v_sub_f32_e32 v17, v55, v17
	v_mov_b32_e32 v94, v93
	v_sub_f32_e32 v34, v81, v34
	v_mul_f32_e32 v50, 0x3f08b237, v44
	v_mul_f32_e32 v44, 0xbf5ff5aa, v51
	v_sub_f32_e32 v63, v63, v82
	v_fma_f32 v54, v17, s6, -v54
	v_fmac_f32_e32 v94, 0xbeae86e6, v68
	v_sub_f32_e32 v75, v34, v28
	v_add_f32_e32 v28, v28, v43
	v_fma_f32 v68, v68, s4, -v44
	v_fma_f32 v44, v63, s6, -v88
	v_add_f32_e32 v82, v54, v72
	v_fma_f32 v54, v63, s7, -v83
	v_add_f32_e32 v85, v34, v28
	v_add_f32_e32 v80, v44, v0
	v_sub_f32_e32 v34, v43, v34
	v_add_f32_e32 v0, v54, v0
	v_fma_f32 v54, v51, s5, -v93
	v_mov_b32_e32 v81, v50
	v_mul_f32_e32 v43, 0xbf5ff5aa, v34
	v_fmac_f32_e32 v54, 0xbee1c552, v95
	v_fmac_f32_e32 v81, 0xbeae86e6, v75
	v_fma_f32 v75, v75, s4, -v43
	v_sub_f32_e32 v51, v0, v54
	v_add_f32_e32 v55, v54, v0
	v_fmac_f32_e32 v75, 0xbee1c552, v85
	v_sub_f32_e32 v43, v82, v75
	v_fma_f32 v34, v34, s5, -v50
	s_waitcnt vmcnt(2)
	v_mul_f32_e32 v0, v48, v59
	v_fmac_f32_e32 v0, v20, v58
	v_mul_f32_e32 v20, v20, v59
	v_fma_f32 v17, v17, s7, -v62
	v_add_f32_e32 v62, v75, v82
	v_mul_f32_e32 v82, v49, v61
	v_fma_f32 v48, v48, v58, -v20
	v_fmac_f32_e32 v68, 0xbee1c552, v95
	v_fmac_f32_e32 v34, 0xbee1c552, v85
	s_waitcnt vmcnt(1)
	v_mul_f32_e32 v75, v56, v77
	v_mul_f32_e32 v20, v30, v77
	s_waitcnt vmcnt(0)
	v_mul_f32_e32 v83, v52, v65
	v_add_f32_e32 v17, v17, v72
	v_fmac_f32_e32 v75, v30, v76
	v_fmac_f32_e32 v82, v23, v60
	;; [unrolled: 1-line block ×3, first 2 shown]
	v_fma_f32 v30, v56, v76, -v20
	v_mul_f32_e32 v20, v27, v79
	v_mul_f32_e32 v26, v26, v65
	;; [unrolled: 1-line block ×3, first 2 shown]
	v_add_f32_e32 v44, v68, v80
	v_add_f32_e32 v50, v34, v17
	v_sub_f32_e32 v54, v17, v34
	v_sub_f32_e32 v63, v80, v68
	v_mul_f32_e32 v17, v57, v67
	v_mul_f32_e32 v68, v53, v79
	v_fma_f32 v53, v53, v78, -v20
	v_fma_f32 v26, v52, v64, -v26
	;; [unrolled: 1-line block ×3, first 2 shown]
	v_fmac_f32_e32 v17, v33, v66
	v_mul_f32_e32 v33, v33, v67
	v_add_f32_e32 v20, v53, v30
	v_add_f32_e32 v49, v23, v26
	v_fma_f32 v33, v57, v66, -v33
	v_sub_f32_e32 v52, v20, v49
	v_add_f32_e32 v57, v48, v33
	v_mul_f32_e32 v52, 0x3d64c772, v52
	v_fmac_f32_e32 v68, v27, v78
	v_sub_f32_e32 v27, v57, v20
	v_mov_b32_e32 v58, v52
	v_mul_f32_e32 v56, 0x3f4a47b2, v27
	v_fmac_f32_e32 v58, 0x3f4a47b2, v27
	v_add_f32_e32 v27, v57, v49
	v_add_f32_e32 v27, v20, v27
	v_sub_f32_e32 v34, v0, v17
	v_add_f32_e32 v20, v47, v27
	v_add_f32_e32 v0, v0, v17
	;; [unrolled: 1-line block ×4, first 2 shown]
	v_mov_b32_e32 v47, v20
	v_sub_f32_e32 v61, v17, v60
	v_fmac_f32_e32 v47, 0xbf955555, v27
	v_mul_f32_e32 v61, 0x3d64c772, v61
	v_add_f32_e32 v64, v58, v47
	v_sub_f32_e32 v58, v0, v17
	v_mov_b32_e32 v65, v61
	v_mul_f32_e32 v59, 0x3f4a47b2, v58
	v_fmac_f32_e32 v65, 0x3f4a47b2, v58
	v_add_f32_e32 v58, v0, v60
	v_add_f32_e32 v17, v17, v58
	;; [unrolled: 1-line block ×3, first 2 shown]
	v_fmac_f32_e32 v94, 0xbee1c552, v95
	v_mov_b32_e32 v58, v19
	v_sub_f32_e32 v30, v53, v30
	v_sub_f32_e32 v23, v23, v26
	v_add_f32_e32 v29, v94, v84
	v_add_f32_e32 v71, v71, v72
	v_fmac_f32_e32 v81, 0xbee1c552, v85
	v_sub_f32_e32 v72, v84, v94
	v_sub_f32_e32 v80, v68, v75
	;; [unrolled: 1-line block ×3, first 2 shown]
	v_fmac_f32_e32 v58, 0xbf955555, v17
	v_sub_f32_e32 v33, v48, v33
	v_sub_f32_e32 v26, v30, v23
	;; [unrolled: 1-line block ×3, first 2 shown]
	v_add_f32_e32 v71, v81, v71
	v_sub_f32_e32 v81, v34, v80
	v_sub_f32_e32 v85, v80, v84
	v_add_f32_e32 v80, v80, v84
	v_add_f32_e32 v17, v65, v58
	v_mul_f32_e32 v53, 0x3f08b237, v26
	v_add_f32_e32 v26, v30, v23
	v_sub_f32_e32 v65, v84, v34
	v_sub_f32_e32 v23, v23, v33
	v_add_f32_e32 v80, v34, v80
	v_sub_f32_e32 v48, v33, v30
	v_mov_b32_e32 v66, v53
	v_add_f32_e32 v30, v33, v26
	v_mul_f32_e32 v34, 0xbf5ff5aa, v65
	v_sub_f32_e32 v49, v49, v57
	v_mul_f32_e32 v33, 0xbf5ff5aa, v23
	v_fmac_f32_e32 v66, 0xbeae86e6, v48
	v_fma_f32 v67, v81, s4, -v34
	v_fma_f32 v34, v49, s6, -v56
	v_fma_f32 v76, v48, s4, -v33
	v_fma_f32 v48, v49, s7, -v52
	v_add_f32_e32 v68, v34, v47
	v_add_f32_e32 v49, v48, v47
	v_mul_hi_u32 v47, v69, s11
	v_fma_f32 v23, v23, s5, -v53
	v_fmac_f32_e32 v66, 0xbee1c552, v30
	v_fmac_f32_e32 v76, 0xbee1c552, v30
	;; [unrolled: 1-line block ×3, first 2 shown]
	v_lshrrev_b32_e32 v30, 7, v47
	v_mul_lo_u32 v30, v30, s10
	v_sub_f32_e32 v0, v60, v0
	v_mul_f32_e32 v85, 0x3f08b237, v85
	v_fma_f32 v56, v0, s6, -v59
	v_sub_u32_e32 v30, v69, v30
	v_mad_u64_u32 v[52:53], s[12:13], s2, v30, 0
	v_mov_b32_e32 v86, v85
	v_add_f32_e32 v75, v56, v58
	v_fma_f32 v56, v65, s5, -v85
	v_fma_f32 v0, v0, s7, -v61
	v_fmac_f32_e32 v86, 0xbeae86e6, v81
	v_fmac_f32_e32 v56, 0xbee1c552, v80
	v_add_f32_e32 v0, v0, v58
	v_fmac_f32_e32 v86, 0xbee1c552, v80
	v_sub_f32_e32 v48, v49, v56
	v_add_f32_e32 v47, v23, v0
	v_add_f32_e32 v57, v56, v49
	v_sub_f32_e32 v56, v0, v23
	v_mov_b32_e32 v0, v53
	v_add_f32_e32 v27, v86, v64
	v_sub_f32_e32 v26, v17, v66
	v_mad_u64_u32 v[60:61], s[12:13], s3, v30, v[0:1]
	v_sub_f32_e32 v65, v64, v86
	v_add_f32_e32 v64, v66, v17
	v_mov_b32_e32 v0, s15
	v_add_co_u32_e32 v17, vcc, s14, v45
	v_add_u32_e32 v49, 0xf3, v30
	v_addc_co_u32_e32 v23, vcc, v0, v46, vcc
	v_mad_u64_u32 v[45:46], s[12:13], s2, v49, 0
	v_lshlrev_b64 v[0:1], 3, v[1:2]
	v_mov_b32_e32 v53, v60
	v_mov_b32_e32 v2, v46
	v_mad_u64_u32 v[60:61], s[12:13], s3, v49, v[2:3]
	v_add_co_u32_e32 v0, vcc, v17, v0
	v_lshlrev_b64 v[52:53], 3, v[52:53]
	v_addc_co_u32_e32 v1, vcc, v23, v1, vcc
	v_add_co_u32_e32 v52, vcc, v0, v52
	v_addc_co_u32_e32 v53, vcc, v1, v53, vcc
	v_mov_b32_e32 v46, v60
	v_add_u32_e32 v17, 0x1e6, v30
	global_store_dwordx2 v[52:53], v[19:20], off
	v_lshlrev_b64 v[19:20], 3, v[45:46]
	v_mad_u64_u32 v[45:46], s[12:13], s2, v17, 0
	v_add_co_u32_e32 v19, vcc, v0, v19
	v_mov_b32_e32 v2, v46
	v_mad_u64_u32 v[52:53], s[12:13], s3, v17, v[2:3]
	v_add_u32_e32 v17, 0x2d9, v30
	v_mad_u64_u32 v[60:61], s[12:13], s2, v17, 0
	v_addc_co_u32_e32 v20, vcc, v1, v20, vcc
	v_mov_b32_e32 v46, v52
	v_mov_b32_e32 v2, v61
	global_store_dwordx2 v[19:20], v[64:65], off
	v_lshlrev_b64 v[19:20], 3, v[45:46]
	v_mad_u64_u32 v[45:46], s[12:13], s3, v17, v[2:3]
	v_add_u32_e32 v17, 0x3cc, v30
	v_fmac_f32_e32 v67, 0xbee1c552, v80
	v_mov_b32_e32 v61, v45
	v_mad_u64_u32 v[45:46], s[12:13], s2, v17, 0
	v_add_co_u32_e32 v19, vcc, v0, v19
	v_mov_b32_e32 v2, v46
	v_sub_f32_e32 v59, v68, v67
	v_add_f32_e32 v58, v76, v75
	v_addc_co_u32_e32 v20, vcc, v1, v20, vcc
	v_mad_u64_u32 v[52:53], s[12:13], s3, v17, v[2:3]
	v_add_u32_e32 v17, 0x4bf, v30
	global_store_dwordx2 v[19:20], v[58:59], off
	v_mad_u64_u32 v[58:59], s[12:13], s2, v17, 0
	v_lshlrev_b64 v[19:20], 3, v[60:61]
	v_mov_b32_e32 v46, v52
	v_add_co_u32_e32 v19, vcc, v0, v19
	v_addc_co_u32_e32 v20, vcc, v1, v20, vcc
	v_mov_b32_e32 v2, v59
	global_store_dwordx2 v[19:20], v[56:57], off
	v_lshlrev_b64 v[19:20], 3, v[45:46]
	v_mad_u64_u32 v[45:46], s[12:13], s3, v17, v[2:3]
	v_add_co_u32_e32 v19, vcc, v0, v19
	v_add_u32_e32 v23, 63, v69
	v_addc_co_u32_e32 v20, vcc, v1, v20, vcc
	v_mov_b32_e32 v59, v45
	v_mul_hi_u32 v2, v23, s11
	global_store_dwordx2 v[19:20], v[47:48], off
	v_lshlrev_b64 v[19:20], 3, v[58:59]
	v_add_u32_e32 v17, 0x5b2, v30
	v_add_co_u32_e32 v19, vcc, v0, v19
	v_add_f32_e32 v34, v67, v68
	v_sub_f32_e32 v33, v75, v76
	v_addc_co_u32_e32 v20, vcc, v1, v20, vcc
	v_mad_u64_u32 v[45:46], s[12:13], s2, v17, 0
	v_lshrrev_b32_e32 v30, 7, v2
	global_store_dwordx2 v[19:20], v[33:34], off
	v_mul_lo_u32 v33, v30, s10
	v_mov_b32_e32 v2, v46
	v_mad_u64_u32 v[19:20], s[12:13], s3, v17, v[2:3]
	v_sub_u32_e32 v2, v23, v33
	s_movk_i32 s14, 0x6a5
	v_mad_u64_u32 v[33:34], s[12:13], v30, s14, v[2:3]
	v_mov_b32_e32 v46, v19
	v_lshlrev_b64 v[19:20], 3, v[45:46]
	v_mad_u64_u32 v[45:46], s[12:13], s2, v33, 0
	v_add_u32_e32 v17, 0xf3, v33
	v_add_co_u32_e32 v19, vcc, v0, v19
	v_mov_b32_e32 v2, v46
	v_mad_u64_u32 v[46:47], s[12:13], s3, v33, v[2:3]
	v_mad_u64_u32 v[47:48], s[12:13], s2, v17, 0
	v_addc_co_u32_e32 v20, vcc, v1, v20, vcc
	global_store_dwordx2 v[19:20], v[26:27], off
	v_lshlrev_b64 v[19:20], 3, v[45:46]
	v_mov_b32_e32 v2, v48
	v_add_co_u32_e32 v19, vcc, v0, v19
	v_mad_u64_u32 v[26:27], s[12:13], s3, v17, v[2:3]
	v_addc_co_u32_e32 v20, vcc, v1, v20, vcc
	v_add_u32_e32 v17, 0x1e6, v33
	global_store_dwordx2 v[19:20], v[24:25], off
	v_mad_u64_u32 v[23:24], s[12:13], s2, v17, 0
	v_mov_b32_e32 v48, v26
	v_lshlrev_b64 v[19:20], 3, v[47:48]
	v_mov_b32_e32 v2, v24
	v_mad_u64_u32 v[24:25], s[12:13], s3, v17, v[2:3]
	v_add_u32_e32 v17, 0x2d9, v33
	v_mad_u64_u32 v[25:26], s[12:13], s2, v17, 0
	v_add_co_u32_e32 v19, vcc, v0, v19
	v_addc_co_u32_e32 v20, vcc, v1, v20, vcc
	v_mov_b32_e32 v2, v26
	global_store_dwordx2 v[19:20], v[71:72], off
	v_lshlrev_b64 v[19:20], 3, v[23:24]
	v_mad_u64_u32 v[23:24], s[12:13], s3, v17, v[2:3]
	v_add_u32_e32 v17, 0x3cc, v33
	v_add_co_u32_e32 v19, vcc, v0, v19
	v_mov_b32_e32 v26, v23
	v_mad_u64_u32 v[23:24], s[12:13], s2, v17, 0
	v_addc_co_u32_e32 v20, vcc, v1, v20, vcc
	v_mov_b32_e32 v2, v24
	global_store_dwordx2 v[19:20], v[62:63], off
	v_lshlrev_b64 v[19:20], 3, v[25:26]
	v_mad_u64_u32 v[24:25], s[12:13], s3, v17, v[2:3]
	v_add_u32_e32 v17, 0x4bf, v33
	v_mad_u64_u32 v[25:26], s[12:13], s2, v17, 0
	v_add_co_u32_e32 v19, vcc, v0, v19
	v_addc_co_u32_e32 v20, vcc, v1, v20, vcc
	v_mov_b32_e32 v2, v26
	global_store_dwordx2 v[19:20], v[54:55], off
	v_lshlrev_b64 v[19:20], 3, v[23:24]
	v_mad_u64_u32 v[23:24], s[12:13], s3, v17, v[2:3]
	v_add_u32_e32 v17, 0x7e, v69
	v_mul_hi_u32 v2, v17, s11
	v_add_co_u32_e32 v19, vcc, v0, v19
	v_addc_co_u32_e32 v20, vcc, v1, v20, vcc
	v_mov_b32_e32 v26, v23
	global_store_dwordx2 v[19:20], v[50:51], off
	v_lshlrev_b64 v[19:20], 3, v[25:26]
	v_lshrrev_b32_e32 v25, 7, v2
	v_mul_lo_u32 v26, v25, s10
	v_add_u32_e32 v27, 0x5b2, v33
	v_mad_u64_u32 v[23:24], s[12:13], s2, v27, 0
	v_sub_u32_e32 v17, v17, v26
	v_mad_u64_u32 v[25:26], s[12:13], v25, s14, v[17:18]
	v_mov_b32_e32 v2, v24
	v_mad_u64_u32 v[26:27], s[12:13], s3, v27, v[2:3]
	v_mad_u64_u32 v[33:34], s[12:13], s2, v25, 0
	v_add_co_u32_e32 v19, vcc, v0, v19
	v_addc_co_u32_e32 v20, vcc, v1, v20, vcc
	v_mov_b32_e32 v24, v26
	v_mov_b32_e32 v2, v34
	global_store_dwordx2 v[19:20], v[43:44], off
	v_lshlrev_b64 v[19:20], 3, v[23:24]
	v_mad_u64_u32 v[23:24], s[12:13], s3, v25, v[2:3]
	v_add_u32_e32 v17, 0xf3, v25
	v_add_co_u32_e32 v19, vcc, v0, v19
	v_mov_b32_e32 v34, v23
	v_mad_u64_u32 v[23:24], s[12:13], s2, v17, 0
	v_addc_co_u32_e32 v20, vcc, v1, v20, vcc
	v_mov_b32_e32 v2, v24
	v_mad_u64_u32 v[26:27], s[12:13], s3, v17, v[2:3]
	v_add_u32_e32 v17, 0x1e6, v25
	global_store_dwordx2 v[19:20], v[28:29], off
	v_mad_u64_u32 v[27:28], s[12:13], s2, v17, 0
	v_lshlrev_b64 v[19:20], 3, v[33:34]
	v_mov_b32_e32 v24, v26
	v_add_co_u32_e32 v19, vcc, v0, v19
	v_addc_co_u32_e32 v20, vcc, v1, v20, vcc
	v_mov_b32_e32 v2, v28
	global_store_dwordx2 v[19:20], v[35:36], off
	v_lshlrev_b64 v[19:20], 3, v[23:24]
	v_mad_u64_u32 v[23:24], s[12:13], s3, v17, v[2:3]
	v_add_u32_e32 v17, 0x2d9, v25
	v_add_co_u32_e32 v19, vcc, v0, v19
	v_mov_b32_e32 v28, v23
	v_mad_u64_u32 v[23:24], s[12:13], s2, v17, 0
	v_addc_co_u32_e32 v20, vcc, v1, v20, vcc
	v_mov_b32_e32 v2, v24
	global_store_dwordx2 v[19:20], v[41:42], off
	v_lshlrev_b64 v[19:20], 3, v[27:28]
	v_mad_u64_u32 v[26:27], s[12:13], s3, v17, v[2:3]
	v_add_u32_e32 v17, 0x3cc, v25
	v_mad_u64_u32 v[27:28], s[12:13], s2, v17, 0
	v_add_co_u32_e32 v19, vcc, v0, v19
	v_addc_co_u32_e32 v20, vcc, v1, v20, vcc
	v_mov_b32_e32 v24, v26
	v_mov_b32_e32 v2, v28
	global_store_dwordx2 v[19:20], v[39:40], off
	v_lshlrev_b64 v[19:20], 3, v[23:24]
	v_mad_u64_u32 v[23:24], s[12:13], s3, v17, v[2:3]
	v_add_u32_e32 v17, 0x4bf, v25
	v_add_co_u32_e32 v19, vcc, v0, v19
	v_mov_b32_e32 v28, v23
	v_mad_u64_u32 v[23:24], s[12:13], s2, v17, 0
	v_addc_co_u32_e32 v20, vcc, v1, v20, vcc
	v_mov_b32_e32 v2, v24
	global_store_dwordx2 v[19:20], v[37:38], off
	v_lshlrev_b64 v[19:20], 3, v[27:28]
	v_mad_u64_u32 v[26:27], s[12:13], s3, v17, v[2:3]
	v_add_u32_e32 v17, 0x5b2, v25
	v_mad_u64_u32 v[27:28], s[12:13], s2, v17, 0
	v_add_co_u32_e32 v19, vcc, v0, v19
	v_addc_co_u32_e32 v20, vcc, v1, v20, vcc
	v_mov_b32_e32 v24, v26
	v_mov_b32_e32 v2, v28
	global_store_dwordx2 v[19:20], v[31:32], off
	v_lshlrev_b64 v[19:20], 3, v[23:24]
	v_mad_u64_u32 v[23:24], s[12:13], s3, v17, v[2:3]
	v_add_co_u32_e32 v19, vcc, v0, v19
	v_addc_co_u32_e32 v20, vcc, v1, v20, vcc
	v_mov_b32_e32 v28, v23
	global_store_dwordx2 v[19:20], v[21:22], off
	v_lshlrev_b64 v[19:20], 3, v[27:28]
	v_add_u32_e32 v2, 0xbd, v69
	v_add_co_u32_e32 v19, vcc, v0, v19
	v_addc_co_u32_e32 v20, vcc, v1, v20, vcc
	v_cmp_gt_u32_e32 vcc, s10, v2
	global_store_dwordx2 v[19:20], v[3:4], off
	s_and_b64 exec, exec, vcc
	s_cbranch_execz .LBB0_20
; %bb.19:
	v_subrev_u32_e32 v3, 54, v69
	v_cndmask_b32_e64 v3, v3, v70, s[0:1]
	v_mul_i32_i24_e32 v17, 6, v3
	v_lshlrev_b64 v[3:4], 3, v[17:18]
	v_mov_b32_e32 v17, s9
	v_add_co_u32_e32 v3, vcc, s8, v3
	v_addc_co_u32_e32 v4, vcc, v17, v4, vcc
	global_load_dwordx4 v[17:20], v[3:4], off offset:1920
	global_load_dwordx4 v[21:24], v[3:4], off offset:1936
	global_load_dwordx4 v[25:28], v[3:4], off offset:1952
	s_waitcnt vmcnt(2)
	v_mul_f32_e32 v3, v9, v18
	v_mul_f32_e32 v4, v5, v18
	;; [unrolled: 1-line block ×4, first 2 shown]
	s_waitcnt vmcnt(0)
	v_mul_f32_e32 v31, v11, v26
	v_mul_f32_e32 v26, v7, v26
	;; [unrolled: 1-line block ×8, first 2 shown]
	v_fmac_f32_e32 v3, v5, v17
	v_fma_f32 v4, v9, v17, -v4
	v_fmac_f32_e32 v18, v6, v19
	v_fma_f32 v5, v10, v19, -v20
	;; [unrolled: 2-line block ×6, first 2 shown]
	v_add_f32_e32 v10, v3, v32
	v_add_f32_e32 v11, v4, v8
	v_sub_f32_e32 v4, v4, v8
	v_add_f32_e32 v8, v18, v31
	v_add_f32_e32 v12, v5, v7
	v_sub_f32_e32 v3, v3, v32
	v_sub_f32_e32 v13, v18, v31
	;; [unrolled: 1-line block ×3, first 2 shown]
	v_add_f32_e32 v7, v29, v30
	v_add_f32_e32 v14, v6, v9
	v_sub_f32_e32 v15, v30, v29
	v_sub_f32_e32 v6, v9, v6
	v_add_f32_e32 v9, v8, v10
	v_add_f32_e32 v16, v12, v11
	v_sub_f32_e32 v17, v8, v10
	v_sub_f32_e32 v18, v12, v11
	;; [unrolled: 1-line block ×6, first 2 shown]
	v_add_f32_e32 v19, v15, v13
	v_add_f32_e32 v20, v6, v5
	v_sub_f32_e32 v21, v15, v13
	v_sub_f32_e32 v22, v6, v5
	;; [unrolled: 1-line block ×4, first 2 shown]
	v_add_f32_e32 v7, v7, v9
	v_add_f32_e32 v9, v14, v16
	v_sub_f32_e32 v15, v3, v15
	v_sub_f32_e32 v6, v4, v6
	v_add_f32_e32 v14, v19, v3
	v_add_f32_e32 v16, v20, v4
	v_mul_f32_e32 v10, 0x3f4a47b2, v10
	v_mul_f32_e32 v11, 0x3f4a47b2, v11
	;; [unrolled: 1-line block ×8, first 2 shown]
	v_add_f32_e32 v4, v74, v9
	v_fma_f32 v19, v17, s7, -v19
	v_fma_f32 v20, v18, s7, -v20
	;; [unrolled: 1-line block ×3, first 2 shown]
	v_fmac_f32_e32 v10, 0x3d64c772, v8
	v_fma_f32 v8, v18, s6, -v11
	v_fma_f32 v18, v13, s5, -v21
	v_fmac_f32_e32 v21, 0xbeae86e6, v15
	v_fma_f32 v13, v5, s5, -v22
	v_fmac_f32_e32 v22, 0xbeae86e6, v6
	v_fma_f32 v23, v15, s4, -v23
	v_fma_f32 v15, v6, s4, -v24
	v_mov_b32_e32 v6, v4
	v_add_f32_e32 v3, v73, v7
	v_fmac_f32_e32 v11, 0x3d64c772, v12
	v_fmac_f32_e32 v6, 0xbf955555, v9
	v_mov_b32_e32 v5, v3
	v_add_f32_e32 v25, v11, v6
	v_mad_u64_u32 v[11:12], s[0:1], s2, v2, 0
	v_fmac_f32_e32 v5, 0xbf955555, v7
	v_add_f32_e32 v19, v19, v5
	v_fmac_f32_e32 v13, 0xbee1c552, v16
	v_add_f32_e32 v20, v20, v6
	v_add_f32_e32 v17, v17, v5
	v_fmac_f32_e32 v18, 0xbee1c552, v14
	v_fmac_f32_e32 v15, 0xbee1c552, v16
	v_sub_f32_e32 v9, v19, v13
	v_add_f32_e32 v13, v13, v19
	v_add_f32_e32 v24, v10, v5
	v_fmac_f32_e32 v21, 0xbee1c552, v14
	v_fmac_f32_e32 v23, 0xbee1c552, v14
	v_add_f32_e32 v7, v15, v17
	v_add_f32_e32 v10, v18, v20
	v_sub_f32_e32 v14, v20, v18
	v_sub_f32_e32 v15, v17, v15
	v_mad_u64_u32 v[17:18], s[0:1], s3, v2, v[12:13]
	v_add_f32_e32 v26, v8, v6
	v_sub_f32_e32 v6, v25, v21
	v_mov_b32_e32 v12, v17
	v_add_u32_e32 v17, 0x1b0, v69
	v_add_f32_e32 v19, v21, v25
	v_mad_u64_u32 v[20:21], s[0:1], s2, v17, 0
	v_fmac_f32_e32 v22, 0xbee1c552, v16
	v_add_f32_e32 v5, v22, v24
	v_mov_b32_e32 v2, v21
	v_sub_f32_e32 v18, v24, v22
	v_lshlrev_b64 v[11:12], 3, v[11:12]
	v_mad_u64_u32 v[21:22], s[0:1], s3, v17, v[2:3]
	v_add_co_u32_e32 v11, vcc, v0, v11
	v_addc_co_u32_e32 v12, vcc, v1, v12, vcc
	v_add_u32_e32 v17, 0x2a3, v69
	v_sub_f32_e32 v8, v26, v23
	v_add_f32_e32 v16, v23, v26
	v_mad_u64_u32 v[22:23], s[0:1], s2, v17, 0
	global_store_dwordx2 v[11:12], v[3:4], off
	v_lshlrev_b64 v[2:3], 3, v[20:21]
	v_mov_b32_e32 v4, v23
	v_add_co_u32_e32 v2, vcc, v0, v2
	v_addc_co_u32_e32 v3, vcc, v1, v3, vcc
	global_store_dwordx2 v[2:3], v[5:6], off
	v_add_u32_e32 v6, 0x396, v69
	v_mad_u64_u32 v[11:12], s[0:1], s3, v17, v[4:5]
	v_mad_u64_u32 v[4:5], s[0:1], s2, v6, 0
	v_mov_b32_e32 v23, v11
	v_lshlrev_b64 v[2:3], 3, v[22:23]
	v_mad_u64_u32 v[5:6], s[0:1], s3, v6, v[5:6]
	v_add_u32_e32 v6, 0x489, v69
	v_mad_u64_u32 v[11:12], s[0:1], s2, v6, 0
	v_add_co_u32_e32 v2, vcc, v0, v2
	v_addc_co_u32_e32 v3, vcc, v1, v3, vcc
	global_store_dwordx2 v[2:3], v[7:8], off
	v_lshlrev_b64 v[2:3], 3, v[4:5]
	v_mov_b32_e32 v4, v12
	v_mad_u64_u32 v[4:5], s[0:1], s3, v6, v[4:5]
	v_add_u32_e32 v6, 0x57c, v69
	v_add_co_u32_e32 v2, vcc, v0, v2
	v_mov_b32_e32 v12, v4
	v_mad_u64_u32 v[4:5], s[0:1], s2, v6, 0
	v_addc_co_u32_e32 v3, vcc, v1, v3, vcc
	v_mad_u64_u32 v[5:6], s[0:1], s3, v6, v[5:6]
	v_add_u32_e32 v8, 0x66f, v69
	global_store_dwordx2 v[2:3], v[9:10], off
	v_lshlrev_b64 v[2:3], 3, v[11:12]
	v_mad_u64_u32 v[6:7], s[0:1], s2, v8, 0
	v_add_co_u32_e32 v2, vcc, v0, v2
	v_addc_co_u32_e32 v3, vcc, v1, v3, vcc
	global_store_dwordx2 v[2:3], v[13:14], off
	v_lshlrev_b64 v[2:3], 3, v[4:5]
	v_mov_b32_e32 v4, v7
	v_mad_u64_u32 v[4:5], s[0:1], s3, v8, v[4:5]
	v_add_co_u32_e32 v2, vcc, v0, v2
	v_addc_co_u32_e32 v3, vcc, v1, v3, vcc
	v_mov_b32_e32 v7, v4
	global_store_dwordx2 v[2:3], v[15:16], off
	v_lshlrev_b64 v[2:3], 3, v[6:7]
	v_add_co_u32_e32 v0, vcc, v0, v2
	v_addc_co_u32_e32 v1, vcc, v1, v3, vcc
	global_store_dwordx2 v[0:1], v[18:19], off
.LBB0_20:
	s_endpgm
	.section	.rodata,"a",@progbits
	.p2align	6, 0x0
	.amdhsa_kernel fft_rtc_back_len1701_factors_3_3_3_3_3_7_wgs_63_tpt_63_halfLds_sp_op_CI_CI_sbrr_dirReg
		.amdhsa_group_segment_fixed_size 0
		.amdhsa_private_segment_fixed_size 0
		.amdhsa_kernarg_size 104
		.amdhsa_user_sgpr_count 6
		.amdhsa_user_sgpr_private_segment_buffer 1
		.amdhsa_user_sgpr_dispatch_ptr 0
		.amdhsa_user_sgpr_queue_ptr 0
		.amdhsa_user_sgpr_kernarg_segment_ptr 1
		.amdhsa_user_sgpr_dispatch_id 0
		.amdhsa_user_sgpr_flat_scratch_init 0
		.amdhsa_user_sgpr_private_segment_size 0
		.amdhsa_uses_dynamic_stack 0
		.amdhsa_system_sgpr_private_segment_wavefront_offset 0
		.amdhsa_system_sgpr_workgroup_id_x 1
		.amdhsa_system_sgpr_workgroup_id_y 0
		.amdhsa_system_sgpr_workgroup_id_z 0
		.amdhsa_system_sgpr_workgroup_info 0
		.amdhsa_system_vgpr_workitem_id 0
		.amdhsa_next_free_vgpr 128
		.amdhsa_next_free_sgpr 32
		.amdhsa_reserve_vcc 1
		.amdhsa_reserve_flat_scratch 0
		.amdhsa_float_round_mode_32 0
		.amdhsa_float_round_mode_16_64 0
		.amdhsa_float_denorm_mode_32 3
		.amdhsa_float_denorm_mode_16_64 3
		.amdhsa_dx10_clamp 1
		.amdhsa_ieee_mode 1
		.amdhsa_fp16_overflow 0
		.amdhsa_exception_fp_ieee_invalid_op 0
		.amdhsa_exception_fp_denorm_src 0
		.amdhsa_exception_fp_ieee_div_zero 0
		.amdhsa_exception_fp_ieee_overflow 0
		.amdhsa_exception_fp_ieee_underflow 0
		.amdhsa_exception_fp_ieee_inexact 0
		.amdhsa_exception_int_div_zero 0
	.end_amdhsa_kernel
	.text
.Lfunc_end0:
	.size	fft_rtc_back_len1701_factors_3_3_3_3_3_7_wgs_63_tpt_63_halfLds_sp_op_CI_CI_sbrr_dirReg, .Lfunc_end0-fft_rtc_back_len1701_factors_3_3_3_3_3_7_wgs_63_tpt_63_halfLds_sp_op_CI_CI_sbrr_dirReg
                                        ; -- End function
	.section	.AMDGPU.csdata,"",@progbits
; Kernel info:
; codeLenInByte = 18116
; NumSgprs: 36
; NumVgprs: 128
; ScratchSize: 0
; MemoryBound: 0
; FloatMode: 240
; IeeeMode: 1
; LDSByteSize: 0 bytes/workgroup (compile time only)
; SGPRBlocks: 4
; VGPRBlocks: 31
; NumSGPRsForWavesPerEU: 36
; NumVGPRsForWavesPerEU: 128
; Occupancy: 2
; WaveLimiterHint : 1
; COMPUTE_PGM_RSRC2:SCRATCH_EN: 0
; COMPUTE_PGM_RSRC2:USER_SGPR: 6
; COMPUTE_PGM_RSRC2:TRAP_HANDLER: 0
; COMPUTE_PGM_RSRC2:TGID_X_EN: 1
; COMPUTE_PGM_RSRC2:TGID_Y_EN: 0
; COMPUTE_PGM_RSRC2:TGID_Z_EN: 0
; COMPUTE_PGM_RSRC2:TIDIG_COMP_CNT: 0
	.type	__hip_cuid_a4d53f39919944ab,@object ; @__hip_cuid_a4d53f39919944ab
	.section	.bss,"aw",@nobits
	.globl	__hip_cuid_a4d53f39919944ab
__hip_cuid_a4d53f39919944ab:
	.byte	0                               ; 0x0
	.size	__hip_cuid_a4d53f39919944ab, 1

	.ident	"AMD clang version 19.0.0git (https://github.com/RadeonOpenCompute/llvm-project roc-6.4.0 25133 c7fe45cf4b819c5991fe208aaa96edf142730f1d)"
	.section	".note.GNU-stack","",@progbits
	.addrsig
	.addrsig_sym __hip_cuid_a4d53f39919944ab
	.amdgpu_metadata
---
amdhsa.kernels:
  - .args:
      - .actual_access:  read_only
        .address_space:  global
        .offset:         0
        .size:           8
        .value_kind:     global_buffer
      - .offset:         8
        .size:           8
        .value_kind:     by_value
      - .actual_access:  read_only
        .address_space:  global
        .offset:         16
        .size:           8
        .value_kind:     global_buffer
      - .actual_access:  read_only
        .address_space:  global
        .offset:         24
        .size:           8
        .value_kind:     global_buffer
      - .actual_access:  read_only
        .address_space:  global
        .offset:         32
        .size:           8
        .value_kind:     global_buffer
      - .offset:         40
        .size:           8
        .value_kind:     by_value
      - .actual_access:  read_only
        .address_space:  global
        .offset:         48
        .size:           8
        .value_kind:     global_buffer
      - .actual_access:  read_only
        .address_space:  global
        .offset:         56
        .size:           8
        .value_kind:     global_buffer
      - .offset:         64
        .size:           4
        .value_kind:     by_value
      - .actual_access:  read_only
        .address_space:  global
        .offset:         72
        .size:           8
        .value_kind:     global_buffer
      - .actual_access:  read_only
        .address_space:  global
        .offset:         80
        .size:           8
        .value_kind:     global_buffer
      - .actual_access:  read_only
        .address_space:  global
        .offset:         88
        .size:           8
        .value_kind:     global_buffer
      - .actual_access:  write_only
        .address_space:  global
        .offset:         96
        .size:           8
        .value_kind:     global_buffer
    .group_segment_fixed_size: 0
    .kernarg_segment_align: 8
    .kernarg_segment_size: 104
    .language:       OpenCL C
    .language_version:
      - 2
      - 0
    .max_flat_workgroup_size: 63
    .name:           fft_rtc_back_len1701_factors_3_3_3_3_3_7_wgs_63_tpt_63_halfLds_sp_op_CI_CI_sbrr_dirReg
    .private_segment_fixed_size: 0
    .sgpr_count:     36
    .sgpr_spill_count: 0
    .symbol:         fft_rtc_back_len1701_factors_3_3_3_3_3_7_wgs_63_tpt_63_halfLds_sp_op_CI_CI_sbrr_dirReg.kd
    .uniform_work_group_size: 1
    .uses_dynamic_stack: false
    .vgpr_count:     128
    .vgpr_spill_count: 0
    .wavefront_size: 64
amdhsa.target:   amdgcn-amd-amdhsa--gfx906
amdhsa.version:
  - 1
  - 2
...

	.end_amdgpu_metadata
